;; amdgpu-corpus repo=ROCm/rocFFT kind=compiled arch=gfx950 opt=O3
	.text
	.amdgcn_target "amdgcn-amd-amdhsa--gfx950"
	.amdhsa_code_object_version 6
	.protected	bluestein_single_back_len1092_dim1_dp_op_CI_CI ; -- Begin function bluestein_single_back_len1092_dim1_dp_op_CI_CI
	.globl	bluestein_single_back_len1092_dim1_dp_op_CI_CI
	.p2align	8
	.type	bluestein_single_back_len1092_dim1_dp_op_CI_CI,@function
bluestein_single_back_len1092_dim1_dp_op_CI_CI: ; @bluestein_single_back_len1092_dim1_dp_op_CI_CI
; %bb.0:
	s_load_dwordx4 s[8:11], s[0:1], 0x28
	v_mul_u32_u24_e32 v1, 0x4ed, v0
	v_mov_b32_e32 v229, 0
	v_add_u32_sdwa v6, s2, v1 dst_sel:DWORD dst_unused:UNUSED_PAD src0_sel:DWORD src1_sel:WORD_1
	v_mov_b32_e32 v7, v229
	s_waitcnt lgkmcnt(0)
	v_cmp_gt_u64_e32 vcc, s[8:9], v[6:7]
	s_and_saveexec_b64 s[2:3], vcc
	s_cbranch_execz .LBB0_31
; %bb.1:
	s_load_dwordx4 s[4:7], s[0:1], 0x18
	s_load_dwordx2 s[14:15], s[0:1], 0x0
	v_mov_b32_e32 v2, s10
	v_mov_b32_e32 v3, s11
	;; [unrolled: 1-line block ×3, first 2 shown]
	s_waitcnt lgkmcnt(0)
	s_load_dwordx4 s[8:11], s[4:5], 0x0
	v_mul_lo_u16_sdwa v1, v1, v4 dst_sel:DWORD dst_unused:UNUSED_PAD src0_sel:WORD_1 src1_sel:DWORD
	v_sub_u16_e32 v228, v0, v1
	v_accvgpr_write_b32 a28, v6
	v_lshlrev_b32_e32 v200, 4, v228
	s_waitcnt lgkmcnt(0)
	v_mad_u64_u32 v[0:1], s[2:3], s10, v6, 0
	v_mov_b32_e32 v4, v1
	v_mad_u64_u32 v[4:5], s[2:3], s11, v6, v[4:5]
	v_mov_b32_e32 v1, v4
	v_mad_u64_u32 v[4:5], s[2:3], s8, v228, 0
	v_mov_b32_e32 v6, v5
	v_mad_u64_u32 v[6:7], s[2:3], s9, v228, v[6:7]
	s_mul_i32 s2, s9, 0x222
	s_mul_hi_u32 s3, s8, 0x222
	v_mov_b32_e32 v5, v6
	v_lshl_add_u64 v[0:1], v[0:1], 4, v[2:3]
	v_mov_b32_e32 v201, v229
	s_add_i32 s3, s3, s2
	s_mul_i32 s2, s8, 0x222
	v_lshl_add_u64 v[0:1], v[4:5], 4, v[0:1]
	v_lshl_add_u64 v[42:43], s[14:15], 0, v[200:201]
	global_load_dwordx4 v[62:65], v200, s[14:15]
	s_lshl_b64 s[4:5], s[2:3], 4
	s_movk_i32 s10, 0x2000
	v_lshl_add_u64 v[2:3], v[0:1], 0, s[4:5]
	global_load_dwordx4 v[20:23], v[0:1], off
	global_load_dwordx4 v[12:15], v[2:3], off
	v_add_co_u32_e32 v28, vcc, s10, v42
	s_mul_hi_u32 s10, s8, 0xfffffe12
	s_nop 0
	v_addc_co_u32_e32 v29, vcc, 0, v43, vcc
	global_load_dwordx4 v[66:69], v[28:29], off offset:544
	s_mulk_i32 s9, 0xfe12
	s_sub_i32 s10, s10, s8
	s_add_i32 s17, s10, s9
	s_mul_i32 s16, s8, 0xfffffe12
	s_lshl_b64 s[18:19], s[16:17], 4
	v_lshl_add_u64 v[0:1], v[2:3], 0, s[18:19]
	global_load_dwordx4 v[4:7], v[0:1], off
	global_load_dwordx4 v[102:105], v200, s[14:15] offset:832
	v_lshl_add_u64 v[8:9], v[0:1], 0, s[4:5]
	global_load_dwordx4 v[106:109], v[28:29], off offset:1376
	global_load_dwordx4 v[0:3], v[8:9], off
	v_lshl_add_u64 v[16:17], v[8:9], 0, s[18:19]
	global_load_dwordx4 v[8:11], v[16:17], off
	global_load_dwordx4 v[82:85], v200, s[14:15] offset:1664
	global_load_dwordx4 v[78:81], v[28:29], off offset:2208
	v_lshl_add_u64 v[24:25], v[16:17], 0, s[4:5]
	global_load_dwordx4 v[16:19], v[24:25], off
	v_lshl_add_u64 v[30:31], v[24:25], 0, s[18:19]
	global_load_dwordx4 v[138:141], v200, s[14:15] offset:2496
	global_load_dwordx4 v[24:27], v[30:31], off
	global_load_dwordx4 v[142:145], v[28:29], off offset:3040
	v_lshl_add_u64 v[30:31], v[30:31], 0, s[4:5]
	s_load_dwordx4 s[8:11], s[6:7], 0x0
	global_load_dwordx4 v[44:47], v[30:31], off
	global_load_dwordx4 v[134:137], v200, s[14:15] offset:3328
	v_lshl_add_u64 v[30:31], v[30:31], 0, s[18:19]
	global_load_dwordx4 v[32:35], v[30:31], off
	s_movk_i32 s20, 0x1000
	v_add_co_u32_e32 v72, vcc, s20, v42
	global_load_dwordx4 v[130:133], v[28:29], off offset:3872
	v_lshl_add_u64 v[28:29], v[30:31], 0, s[4:5]
	s_movk_i32 s21, 0x3000
	v_addc_co_u32_e32 v73, vcc, 0, v43, vcc
	global_load_dwordx4 v[36:39], v[28:29], off
	global_load_dwordx4 v[126:129], v[72:73], off offset:64
	v_lshl_add_u64 v[40:41], v[28:29], 0, s[18:19]
	global_load_dwordx4 v[28:31], v[40:41], off
	v_add_co_u32_e32 v76, vcc, s21, v42
	v_lshl_add_u64 v[48:49], v[40:41], 0, s[4:5]
	s_nop 0
	v_addc_co_u32_e32 v77, vcc, 0, v43, vcc
	global_load_dwordx4 v[114:117], v[76:77], off offset:608
	v_accvgpr_write_b32 a0, v42
	v_lshl_add_u64 v[52:53], v[48:49], 0, s[18:19]
	v_accvgpr_write_b32 a1, v43
	global_load_dwordx4 v[40:43], v[48:49], off
	global_load_dwordx4 v[90:93], v[72:73], off offset:896
	global_load_dwordx4 v[86:89], v[76:77], off offset:1440
	v_lshl_add_u64 v[60:61], v[52:53], 0, s[4:5]
	global_load_dwordx4 v[48:51], v[52:53], off
	s_load_dwordx2 s[12:13], s[0:1], 0x38
	global_load_dwordx4 v[52:55], v[60:61], off
	s_waitcnt vmcnt(27)
	v_accvgpr_write_b32 a12, v62
	v_accvgpr_write_b32 a13, v63
	;; [unrolled: 1-line block ×3, first 2 shown]
	s_waitcnt vmcnt(26)
	v_mul_f64 v[56:57], v[22:23], v[64:65]
	v_mul_f64 v[58:59], v[20:21], v[64:65]
	v_fmac_f64_e32 v[56:57], v[20:21], v[62:63]
	v_fma_f64 v[58:59], v[22:23], v[62:63], -v[58:59]
	ds_write_b128 v200, v[56:59]
	v_lshl_add_u64 v[22:23], v[60:61], 0, s[18:19]
	global_load_dwordx4 v[56:59], v[22:23], off
	global_load_dwordx4 v[110:113], v[72:73], off offset:1728
	s_waitcnt vmcnt(26)
	v_mul_f64 v[20:21], v[14:15], v[68:69]
	v_accvgpr_write_b32 a15, v65
	v_fmac_f64_e32 v[20:21], v[12:13], v[66:67]
	v_mul_f64 v[12:13], v[12:13], v[68:69]
	v_lshl_add_u64 v[64:65], v[22:23], 0, s[4:5]
	global_load_dwordx4 v[60:63], v[64:65], off
	global_load_dwordx4 v[118:121], v[76:77], off offset:2272
	v_fma_f64 v[22:23], v[14:15], v[66:67], -v[12:13]
	ds_write_b128 v200, v[20:23] offset:8736
	v_lshl_add_u64 v[22:23], v[64:65], 0, s[18:19]
	v_accvgpr_write_b32 a4, v66
	global_load_dwordx4 v[12:15], v[22:23], off
	global_load_dwordx4 v[98:101], v[72:73], off offset:2560
	v_accvgpr_write_b32 a5, v67
	v_accvgpr_write_b32 a6, v68
	;; [unrolled: 1-line block ×3, first 2 shown]
	s_waitcnt vmcnt(28)
	v_mul_f64 v[20:21], v[6:7], v[104:105]
	v_lshl_add_u64 v[68:69], v[22:23], 0, s[4:5]
	v_fmac_f64_e32 v[20:21], v[4:5], v[102:103]
	global_load_dwordx4 v[64:67], v[68:69], off
	global_load_dwordx4 v[94:97], v[76:77], off offset:3104
	v_mul_f64 v[4:5], v[4:5], v[104:105]
	v_accvgpr_write_b32 a38, v102
	v_fma_f64 v[22:23], v[6:7], v[102:103], -v[4:5]
	v_lshl_add_u64 v[4:5], v[68:69], 0, s[18:19]
	v_accvgpr_write_b32 a39, v103
	v_accvgpr_write_b32 a40, v104
	;; [unrolled: 1-line block ×3, first 2 shown]
	global_load_dwordx4 v[68:71], v[4:5], off
	global_load_dwordx4 v[102:105], v[72:73], off offset:3392
	ds_write_b128 v200, v[20:23] offset:832
	v_lshl_add_u64 v[4:5], v[4:5], 0, s[4:5]
	global_load_dwordx4 v[72:75], v[4:5], off
	global_load_dwordx4 v[122:125], v[76:77], off offset:3936
	s_waitcnt vmcnt(32)
	v_mul_f64 v[20:21], v[2:3], v[108:109]
	v_fmac_f64_e32 v[20:21], v[0:1], v[106:107]
	v_mul_f64 v[0:1], v[0:1], v[108:109]
	v_fma_f64 v[22:23], v[2:3], v[106:107], -v[0:1]
	s_waitcnt vmcnt(30)
	v_mul_f64 v[0:1], v[10:11], v[84:85]
	v_mul_f64 v[2:3], v[8:9], v[84:85]
	v_fmac_f64_e32 v[0:1], v[8:9], v[82:83]
	v_fma_f64 v[2:3], v[10:11], v[82:83], -v[2:3]
	ds_write_b128 v200, v[0:3] offset:1664
	s_waitcnt vmcnt(28)
	v_mul_f64 v[0:1], v[18:19], v[80:81]
	v_mul_f64 v[2:3], v[16:17], v[80:81]
	v_fmac_f64_e32 v[0:1], v[16:17], v[78:79]
	v_fma_f64 v[2:3], v[18:19], v[78:79], -v[2:3]
	ds_write_b128 v200, v[0:3] offset:10400
	;; [unrolled: 6-line block ×14, first 2 shown]
	v_accvgpr_write_b32 a42, v106
	v_accvgpr_write_b32 a16, v82
	s_waitcnt vmcnt(2)
	v_mul_f64 v[0:1], v[70:71], v[104:105]
	v_mul_f64 v[2:3], v[68:69], v[104:105]
	v_fmac_f64_e32 v[0:1], v[68:69], v[102:103]
	v_fma_f64 v[2:3], v[70:71], v[102:103], -v[2:3]
	v_accvgpr_write_b32 a8, v78
	v_accvgpr_write_b32 a78, v138
	;; [unrolled: 1-line block ×14, first 2 shown]
	ds_write_b128 v200, v[0:3] offset:7488
	s_waitcnt vmcnt(0)
	v_mul_f64 v[0:1], v[74:75], v[124:125]
	v_mul_f64 v[2:3], v[72:73], v[124:125]
	v_accvgpr_write_b32 a62, v122
	v_accvgpr_write_b32 a43, v107
	;; [unrolled: 1-line block ×49, first 2 shown]
	v_fmac_f64_e32 v[0:1], v[72:73], v[122:123]
	v_accvgpr_write_b32 a63, v123
	v_accvgpr_write_b32 a64, v124
	;; [unrolled: 1-line block ×3, first 2 shown]
	v_fma_f64 v[2:3], v[74:75], v[122:123], -v[2:3]
	v_cmp_gt_u16_e64 s[4:5], 26, v228
	ds_write_b128 v200, v[20:23] offset:9568
	ds_write_b128 v200, v[0:3] offset:16224
	s_and_saveexec_b64 s[6:7], s[4:5]
	s_cbranch_execz .LBB0_3
; %bb.2:
	v_accvgpr_read_b32 v13, a1
	v_accvgpr_read_b32 v12, a0
	v_lshl_add_u64 v[8:9], s[16:17], 4, v[4:5]
	v_add_co_u32_e32 v4, vcc, 0x2000, v12
	global_load_dwordx4 v[0:3], v[8:9], off
	s_nop 0
	v_addc_co_u32_e32 v5, vcc, 0, v13, vcc
	v_lshl_add_u64 v[8:9], s[2:3], 4, v[8:9]
	s_movk_i32 s2, 0x4000
	v_add_co_u32_e32 v12, vcc, s2, v12
	global_load_dwordx4 v[4:7], v[4:5], off offset:128
	s_nop 0
	v_addc_co_u32_e32 v13, vcc, 0, v13, vcc
	global_load_dwordx4 v[8:11], v[8:9], off
	s_waitcnt vmcnt(1)
	v_mul_f64 v[16:17], v[2:3], v[6:7]
	global_load_dwordx4 v[12:15], v[12:13], off offset:672
	v_mul_f64 v[18:19], v[0:1], v[6:7]
	v_fmac_f64_e32 v[16:17], v[0:1], v[4:5]
	v_fma_f64 v[18:19], v[2:3], v[4:5], -v[18:19]
	s_waitcnt vmcnt(0)
	v_mul_f64 v[6:7], v[10:11], v[14:15]
	v_mul_f64 v[14:15], v[8:9], v[14:15]
	v_fmac_f64_e32 v[6:7], v[8:9], v[12:13]
	v_fma_f64 v[8:9], v[10:11], v[12:13], -v[14:15]
	ds_write_b128 v200, v[16:19] offset:8320
	ds_write_b128 v200, v[6:9] offset:17056
.LBB0_3:
	s_or_b64 exec, exec, s[6:7]
	s_waitcnt lgkmcnt(0)
	; wave barrier
	s_waitcnt lgkmcnt(0)
	ds_read_b128 v[80:83], v200
	ds_read_b128 v[68:71], v200 offset:832
	ds_read_b128 v[84:87], v200 offset:8736
	;; [unrolled: 1-line block ×19, first 2 shown]
                                        ; implicit-def: $vgpr4_vgpr5
                                        ; implicit-def: $vgpr16_vgpr17
	s_and_saveexec_b64 s[2:3], s[4:5]
	s_cbranch_execz .LBB0_5
; %bb.4:
	ds_read_b128 v[4:7], v200 offset:8320
	ds_read_b128 v[16:19], v200 offset:17056
.LBB0_5:
	s_or_b64 exec, exec, s[2:3]
	s_waitcnt lgkmcnt(14)
	v_add_f64 v[84:85], v[80:81], -v[84:85]
	v_add_f64 v[86:87], v[82:83], -v[86:87]
	s_waitcnt lgkmcnt(0)
	v_add_f64 v[8:9], v[0:1], -v[8:9]
	v_lshl_add_u64 v[104:105], v[228:229], 0, 52
	v_fma_f64 v[80:81], v[80:81], 2.0, -v[84:85]
	v_fma_f64 v[82:83], v[82:83], 2.0, -v[86:87]
	;; [unrolled: 1-line block ×3, first 2 shown]
	v_add_f64 v[0:1], v[4:5], -v[16:17]
	v_lshlrev_b32_e32 v16, 5, v228
	s_mov_b64 s[2:3], 0x68
	v_add_f64 v[76:77], v[68:69], -v[76:77]
	v_add_f64 v[78:79], v[70:71], -v[78:79]
	s_waitcnt lgkmcnt(0)
	; wave barrier
	ds_write_b128 v16, v[80:83]
	v_accvgpr_write_b32 a86, v16
	ds_write_b128 v16, v[84:87] offset:16
	v_lshlrev_b32_e32 v16, 1, v104
	v_lshl_add_u64 v[102:103], v[228:229], 0, s[2:3]
	v_fma_f64 v[68:69], v[68:69], 2.0, -v[76:77]
	v_fma_f64 v[70:71], v[70:71], 2.0, -v[78:79]
	v_accvgpr_write_b32 a150, v16
	v_lshlrev_b32_e32 v16, 5, v104
	v_lshlrev_b32_e32 v98, 1, v228
	v_add_f64 v[72:73], v[64:65], -v[72:73]
	v_add_f64 v[74:75], v[66:67], -v[74:75]
	ds_write_b128 v16, v[68:71]
	v_accvgpr_write_b32 a87, v16
	ds_write_b128 v16, v[76:79] offset:16
	v_lshlrev_b32_e32 v16, 1, v102
	s_mov_b64 s[2:3], 0xd0
	v_fma_f64 v[64:65], v[64:65], 2.0, -v[72:73]
	v_fma_f64 v[66:67], v[66:67], 2.0, -v[74:75]
	v_accvgpr_write_b32 a109, v16
	v_lshlrev_b32_e32 v16, 5, v102
	v_add_u32_e32 v77, 0x138, v98
	v_lshl_add_u64 v[92:93], v[228:229], 0, s[2:3]
	s_mov_b64 s[2:3], 0x104
	v_add_f64 v[60:61], v[52:53], -v[60:61]
	v_add_f64 v[62:63], v[54:55], -v[62:63]
	;; [unrolled: 1-line block ×5, first 2 shown]
	ds_write_b128 v16, v[64:67]
	v_accvgpr_write_b32 a88, v16
	ds_write_b128 v16, v[72:75] offset:16
	v_lshlrev_b32_e32 v16, 4, v77
	v_lshl_add_u64 v[94:95], v[228:229], 0, s[2:3]
	s_mov_b64 s[2:3], 0x138
	v_fma_f64 v[52:53], v[52:53], 2.0, -v[60:61]
	v_fma_f64 v[54:55], v[54:55], 2.0, -v[62:63]
	;; [unrolled: 1-line block ×4, first 2 shown]
	v_add_f64 v[44:45], v[36:37], -v[44:45]
	v_add_f64 v[46:47], v[38:39], -v[46:47]
	v_fma_f64 v[90:91], v[2:3], 2.0, -v[10:11]
	v_add_f64 v[2:3], v[6:7], -v[18:19]
	v_lshlrev_b32_e32 v18, 4, v98
	v_accvgpr_write_b32 a90, v16
	ds_write_b128 v16, v[60:63] offset:16
	v_lshlrev_b32_e32 v16, 5, v92
	v_lshl_add_u64 v[100:101], v[228:229], 0, s[2:3]
	v_fma_f64 v[36:37], v[36:37], 2.0, -v[44:45]
	v_fma_f64 v[38:39], v[38:39], 2.0, -v[46:47]
	v_add_f64 v[40:41], v[32:33], -v[40:41]
	v_add_f64 v[42:43], v[34:35], -v[42:43]
	ds_write_b128 v18, v[52:55] offset:4992
	ds_write_b128 v16, v[48:51]
	v_accvgpr_write_b32 a92, v16
	ds_write_b128 v16, v[56:59] offset:16
	v_lshlrev_b32_e32 v16, 5, v94
	s_load_dwordx2 s[0:1], s[0:1], 0x8
	v_fma_f64 v[32:33], v[32:33], 2.0, -v[40:41]
	v_fma_f64 v[34:35], v[34:35], 2.0, -v[42:43]
	v_add_f64 v[24:25], v[12:13], -v[24:25]
	v_add_f64 v[26:27], v[14:15], -v[26:27]
	ds_write_b128 v16, v[36:39]
	v_accvgpr_write_b32 a94, v16
	ds_write_b128 v16, v[44:47] offset:16
	v_lshlrev_b32_e32 v16, 5, v100
	v_add_u32_e32 v75, 0x2d8, v98
	s_mov_b64 s[2:3], 0x208
	v_add_f64 v[28:29], v[20:21], -v[28:29]
	v_add_f64 v[30:31], v[22:23], -v[30:31]
	v_fma_f64 v[12:13], v[12:13], 2.0, -v[24:25]
	v_fma_f64 v[14:15], v[14:15], 2.0, -v[26:27]
	ds_write_b128 v16, v[32:35]
	v_accvgpr_write_b32 a96, v16
	ds_write_b128 v16, v[40:43] offset:16
	v_lshlrev_b32_e32 v16, 4, v75
	v_add_u32_e32 v76, 0x340, v98
	v_add_u32_e32 v72, 0x3a8, v98
	v_lshl_add_u64 v[96:97], v[228:229], 0, s[2:3]
	v_fma_f64 v[20:21], v[20:21], 2.0, -v[28:29]
	v_fma_f64 v[22:23], v[22:23], 2.0, -v[30:31]
	v_accvgpr_write_b32 a91, v16
	ds_write_b128 v16, v[28:31] offset:16
	v_lshlrev_b32_e32 v16, 4, v76
	ds_write_b128 v18, v[12:15] offset:13312
	v_lshlrev_b32_e32 v12, 4, v72
	ds_write_b128 v18, v[20:23] offset:11648
	ds_write_b128 v16, v[24:27] offset:16
	ds_write_b128 v12, v[8:11] offset:16
	v_lshlrev_b32_e32 v8, 5, v96
	v_fma_f64 v[4:5], v[4:5], 2.0, -v[0:1]
	v_fma_f64 v[6:7], v[6:7], 2.0, -v[2:3]
	v_accvgpr_write_b32 a108, v104
	v_accvgpr_write_b32 a126, v102
	v_lshlrev_b32_e32 v78, 1, v92
	v_lshlrev_b32_e32 v73, 1, v94
	;; [unrolled: 1-line block ×3, first 2 shown]
	v_accvgpr_write_b32 a93, v16
	v_accvgpr_write_b32 a152, v18
	;; [unrolled: 1-line block ×4, first 2 shown]
	ds_write_b128 v18, v[88:91] offset:14976
	s_and_saveexec_b64 s[2:3], s[4:5]
	s_cbranch_execz .LBB0_7
; %bb.6:
	v_accvgpr_read_b32 v8, a89
	ds_write_b128 v8, v[4:7]
	ds_write_b128 v8, v[0:3] offset:16
.LBB0_7:
	s_or_b64 exec, exec, s[2:3]
	s_waitcnt lgkmcnt(0)
	; wave barrier
	s_waitcnt lgkmcnt(0)
	ds_read_b128 v[12:15], v200
	ds_read_b128 v[16:19], v200 offset:832
	ds_read_b128 v[20:23], v200 offset:8736
	;; [unrolled: 1-line block ×19, first 2 shown]
	s_and_saveexec_b64 s[2:3], s[4:5]
	s_cbranch_execz .LBB0_9
; %bb.8:
	ds_read_b128 v[4:7], v200 offset:8320
	ds_read_b128 v[0:3], v200 offset:17056
.LBB0_9:
	s_or_b64 exec, exec, s[2:3]
	v_and_b32_e32 v97, 1, v228
	v_lshlrev_b32_e32 v79, 4, v97
	global_load_dwordx4 v[128:131], v79, s[0:1]
	s_movk_i32 s2, 0x7c
	s_waitcnt lgkmcnt(0)
	; wave barrier
	s_waitcnt lgkmcnt(0)
	s_movk_i32 s3, 0x2fc
	v_accvgpr_write_b32 a29, v97
	s_waitcnt vmcnt(0)
	v_mul_f64 v[100:101], v[22:23], v[130:131]
	v_mul_f64 v[116:117], v[54:55], v[130:131]
	;; [unrolled: 1-line block ×5, first 2 shown]
	v_fma_f64 v[20:21], v[20:21], v[128:129], -v[100:101]
	v_fma_f64 v[100:101], v[52:53], v[128:129], -v[116:117]
	;; [unrolled: 1-line block ×3, first 2 shown]
	v_mul_f64 v[112:113], v[42:43], v[130:131]
	v_mul_f64 v[114:115], v[40:41], v[130:131]
	;; [unrolled: 1-line block ×5, first 2 shown]
	v_fmac_f64_e32 v[102:103], v[22:23], v[128:129]
	v_fma_f64 v[68:69], v[68:69], v[128:129], -v[136:137]
	v_add_f64 v[136:137], v[4:5], -v[116:117]
	v_mul_f64 v[144:145], v[64:65], v[130:131]
	v_fma_f64 v[22:23], v[40:41], v[128:129], -v[112:113]
	v_fmac_f64_e32 v[114:115], v[42:43], v[128:129]
	v_fma_f64 v[112:113], v[56:57], v[128:129], -v[132:133]
	v_fma_f64 v[64:65], v[64:65], v[128:129], -v[140:141]
	v_add_f64 v[40:41], v[12:13], -v[20:21]
	v_add_f64 v[42:43], v[14:15], -v[102:103]
	v_fma_f64 v[132:133], v[4:5], 2.0, -v[136:137]
	v_and_or_b32 v4, v98, s2, v97
	v_mul_f64 v[104:105], v[10:11], v[130:131]
	v_mul_f64 v[106:107], v[8:9], v[130:131]
	v_fmac_f64_e32 v[144:145], v[66:67], v[128:129]
	v_add_f64 v[20:21], v[24:25], -v[64:65]
	v_fma_f64 v[64:65], v[12:13], 2.0, -v[40:41]
	v_fma_f64 v[66:67], v[14:15], 2.0, -v[42:43]
	v_lshlrev_b32_e32 v4, 4, v4
	v_mul_f64 v[108:109], v[46:47], v[130:131]
	v_mul_f64 v[110:111], v[44:45], v[130:131]
	v_fma_f64 v[8:9], v[8:9], v[128:129], -v[104:105]
	v_fmac_f64_e32 v[106:107], v[10:11], v[128:129]
	ds_write_b128 v4, v[64:67]
	v_accvgpr_write_b32 a97, v4
	ds_write_b128 v4, v[40:43] offset:32
	s_movk_i32 s2, 0xfc
	v_accvgpr_read_b32 v4, a150
	v_fma_f64 v[10:11], v[44:45], v[128:129], -v[108:109]
	v_fmac_f64_e32 v[110:111], v[46:47], v[128:129]
	v_add_f64 v[44:45], v[16:17], -v[8:9]
	v_add_f64 v[46:47], v[18:19], -v[106:107]
	v_and_or_b32 v4, v4, s2, v97
	v_fmac_f64_e32 v[138:139], v[70:71], v[128:129]
	v_add_f64 v[8:9], v[92:93], -v[68:69]
	v_fma_f64 v[68:69], v[16:17], 2.0, -v[44:45]
	v_fma_f64 v[70:71], v[18:19], 2.0, -v[46:47]
	v_lshlrev_b32_e32 v4, 4, v4
	v_mul_f64 v[120:121], v[50:51], v[130:131]
	v_mul_f64 v[122:123], v[48:49], v[130:131]
	ds_write_b128 v4, v[68:71]
	v_accvgpr_write_b32 a98, v4
	ds_write_b128 v4, v[44:47] offset:32
	s_movk_i32 s2, 0x1fc
	v_accvgpr_read_b32 v4, a109
	v_fma_f64 v[104:105], v[48:49], v[128:129], -v[120:121]
	v_fmac_f64_e32 v[122:123], v[50:51], v[128:129]
	v_add_f64 v[48:49], v[28:29], -v[10:11]
	v_add_f64 v[50:51], v[30:31], -v[110:111]
	v_and_or_b32 v4, v4, s2, v97
	v_mul_f64 v[118:119], v[52:53], v[130:131]
	v_fma_f64 v[28:29], v[28:29], 2.0, -v[48:49]
	v_fma_f64 v[30:31], v[30:31], 2.0, -v[50:51]
	v_lshlrev_b32_e32 v4, 4, v4
	v_fmac_f64_e32 v[118:119], v[54:55], v[128:129]
	v_add_f64 v[52:53], v[32:33], -v[22:23]
	v_add_f64 v[54:55], v[34:35], -v[114:115]
	ds_write_b128 v4, v[28:31]
	v_accvgpr_write_b32 a99, v4
	ds_write_b128 v4, v[48:51] offset:32
	v_and_or_b32 v4, v77, s2, v97
	v_mul_f64 v[134:135], v[56:57], v[130:131]
	v_fma_f64 v[32:33], v[32:33], 2.0, -v[52:53]
	v_fma_f64 v[34:35], v[34:35], 2.0, -v[54:55]
	v_lshlrev_b32_e32 v4, 4, v4
	s_movk_i32 s2, 0x3fc
	v_fmac_f64_e32 v[134:135], v[58:59], v[128:129]
	v_add_f64 v[56:57], v[36:37], -v[100:101]
	v_add_f64 v[58:59], v[38:39], -v[118:119]
	ds_write_b128 v4, v[32:35]
	v_accvgpr_write_b32 a100, v4
	ds_write_b128 v4, v[52:55] offset:32
	v_and_or_b32 v4, v78, s2, v97
	v_mul_f64 v[124:125], v[62:63], v[130:131]
	v_mul_f64 v[126:127], v[60:61], v[130:131]
	v_fma_f64 v[36:37], v[36:37], 2.0, -v[56:57]
	v_fma_f64 v[38:39], v[38:39], 2.0, -v[58:59]
	v_lshlrev_b32_e32 v4, 4, v4
	v_fma_f64 v[108:109], v[60:61], v[128:129], -v[124:125]
	v_fmac_f64_e32 v[126:127], v[62:63], v[128:129]
	v_add_f64 v[60:61], v[80:81], -v[104:105]
	v_add_f64 v[62:63], v[82:83], -v[122:123]
	ds_write_b128 v4, v[36:39]
	v_accvgpr_write_b32 a101, v4
	ds_write_b128 v4, v[56:59] offset:32
	v_and_or_b32 v4, v73, s3, v97
	v_fma_f64 v[80:81], v[80:81], 2.0, -v[60:61]
	v_fma_f64 v[82:83], v[82:83], 2.0, -v[62:63]
	v_lshlrev_b32_e32 v4, 4, v4
	v_add_f64 v[140:141], v[84:85], -v[108:109]
	v_add_f64 v[142:143], v[86:87], -v[126:127]
	ds_write_b128 v4, v[80:83]
	v_accvgpr_write_b32 a102, v4
	ds_write_b128 v4, v[60:63] offset:32
	v_and_or_b32 v4, v74, s3, v97
	v_mul_f64 v[146:147], v[0:1], v[130:131]
	v_fma_f64 v[84:85], v[84:85], 2.0, -v[140:141]
	v_fma_f64 v[86:87], v[86:87], 2.0, -v[142:143]
	v_lshlrev_b32_e32 v4, 4, v4
	v_fmac_f64_e32 v[146:147], v[2:3], v[128:129]
	v_add_f64 v[0:1], v[88:89], -v[112:113]
	v_add_f64 v[2:3], v[90:91], -v[134:135]
	ds_write_b128 v4, v[84:87]
	v_accvgpr_write_b32 a103, v4
	ds_write_b128 v4, v[140:143] offset:32
	v_and_or_b32 v4, v75, s2, v97
	v_fma_f64 v[12:13], v[88:89], 2.0, -v[0:1]
	v_fma_f64 v[14:15], v[90:91], 2.0, -v[2:3]
	v_lshlrev_b32_e32 v4, 4, v4
	v_add_f64 v[10:11], v[94:95], -v[138:139]
	ds_write_b128 v4, v[12:15]
	v_accvgpr_write_b32 a104, v4
	ds_write_b128 v4, v[0:3] offset:32
	v_and_or_b32 v4, v76, s2, v97
	v_fma_f64 v[16:17], v[92:93], 2.0, -v[8:9]
	v_fma_f64 v[18:19], v[94:95], 2.0, -v[10:11]
	v_lshlrev_b32_e32 v4, 4, v4
	s_movk_i32 s2, 0x7fc
	v_add_f64 v[22:23], v[26:27], -v[144:145]
	ds_write_b128 v4, v[16:19]
	v_accvgpr_write_b32 a105, v4
	ds_write_b128 v4, v[8:11] offset:32
	v_and_or_b32 v4, v72, s2, v97
	v_fma_f64 v[24:25], v[24:25], 2.0, -v[20:21]
	v_fma_f64 v[26:27], v[26:27], 2.0, -v[22:23]
	v_lshlrev_b32_e32 v4, 4, v4
	v_add_f64 v[138:139], v[6:7], -v[146:147]
	ds_write_b128 v4, v[24:27]
	v_accvgpr_write_b32 a106, v4
	ds_write_b128 v4, v[20:23] offset:32
	v_lshlrev_b32_e32 v4, 1, v96
	v_fma_f64 v[134:135], v[6:7], 2.0, -v[138:139]
	v_accvgpr_write_b32 a107, v4
	s_and_saveexec_b64 s[2:3], s[4:5]
	s_cbranch_execz .LBB0_11
; %bb.10:
	s_movk_i32 s6, 0x47c
	v_accvgpr_read_b32 v4, a29
	v_accvgpr_read_b32 v5, a107
	v_and_or_b32 v4, v5, s6, v4
	v_lshlrev_b32_e32 v4, 4, v4
	ds_write_b128 v4, v[132:135]
	ds_write_b128 v4, v[136:139] offset:32
.LBB0_11:
	s_or_b64 exec, exec, s[2:3]
	s_waitcnt lgkmcnt(0)
	; wave barrier
	s_waitcnt lgkmcnt(0)
	ds_read_b128 v[4:7], v200
	ds_read_b128 v[184:187], v200 offset:1344
	ds_read_b128 v[180:183], v200 offset:2688
	;; [unrolled: 1-line block ×12, first 2 shown]
	v_cmp_gt_u16_e64 s[2:3], 32, v228
                                        ; implicit-def: $vgpr32_vgpr33
                                        ; implicit-def: $vgpr188_vgpr189
                                        ; implicit-def: $vgpr192_vgpr193
                                        ; implicit-def: $vgpr196_vgpr197
	s_and_saveexec_b64 s[6:7], s[2:3]
	s_cbranch_execz .LBB0_13
; %bb.12:
	ds_read_b128 v[140:143], v200 offset:832
	ds_read_b128 v[12:15], v200 offset:2176
	;; [unrolled: 1-line block ×13, first 2 shown]
.LBB0_13:
	s_or_b64 exec, exec, s[6:7]
	v_and_b32_e32 v37, 3, v228
	v_mul_u32_u24_e32 v36, 12, v37
	v_lshlrev_b32_e32 v36, 4, v36
	global_load_dwordx4 v[80:83], v36, s[0:1] offset:32
	global_load_dwordx4 v[84:87], v36, s[0:1] offset:48
	;; [unrolled: 1-line block ×12, first 2 shown]
	s_mov_b32 s38, 0x4267c47c
	s_mov_b32 s30, 0x42a4c3d2
	;; [unrolled: 1-line block ×18, first 2 shown]
	v_accvgpr_write_b32 a3, v37
	v_accvgpr_write_b32 a2, v228
	s_mov_b32 s7, 0x3fec55a7
	s_mov_b32 s17, 0x3fe22d96
	s_mov_b32 s19, 0x3fbedb7d
	s_mov_b32 s25, 0xbfd6b1d8
	s_mov_b32 s21, 0xbfe7f3cc
	s_mov_b32 s23, 0xbfef11f4
	s_mov_b32 s45, 0x3fe5384d
	s_mov_b32 s44, s34
	s_mov_b32 s41, 0x3fefc445
	s_mov_b32 s40, s26
	s_mov_b32 s43, 0x3fddbe06
	s_mov_b32 s42, s38
	s_mov_b32 s47, 0x3fedeba7
	s_mov_b32 s46, s28
	s_mov_b32 s51, 0x3fcea1e5
	s_mov_b32 s50, s36
	s_mov_b32 s49, 0x3fea55e2
	s_mov_b32 s48, s30
	s_waitcnt lgkmcnt(0)
	; wave barrier
	s_waitcnt vmcnt(11) lgkmcnt(0)
	v_mul_f64 v[218:219], v[14:15], v[82:83]
	s_waitcnt vmcnt(10)
	v_mul_f64 v[72:73], v[180:181], v[86:87]
	v_mul_f64 v[220:221], v[2:3], v[86:87]
	;; [unrolled: 1-line block ×4, first 2 shown]
	v_fmac_f64_e32 v[72:73], v[182:183], v[84:85]
	v_fma_f64 v[182:183], v[0:1], v[84:85], -v[220:221]
	s_waitcnt vmcnt(5)
	v_mul_f64 v[0:1], v[134:135], v[110:111]
	v_mul_f64 v[66:67], v[176:177], v[90:91]
	;; [unrolled: 1-line block ×3, first 2 shown]
	s_waitcnt vmcnt(1)
	v_mul_f64 v[212:213], v[146:147], v[118:119]
	v_mul_f64 v[202:203], v[144:145], v[118:119]
	s_waitcnt vmcnt(0)
	v_mul_f64 v[214:215], v[30:31], v[106:107]
	v_fma_f64 v[144:145], v[144:145], v[116:117], -v[212:213]
	v_fma_f64 v[212:213], v[132:133], v[108:109], -v[0:1]
	v_mul_f64 v[0:1], v[138:139], v[102:103]
	v_mul_f64 v[216:217], v[28:29], v[106:107]
	v_fma_f64 v[28:29], v[28:29], v[104:105], -v[214:215]
	v_fma_f64 v[214:215], v[136:137], v[100:101], -v[0:1]
	v_mul_f64 v[0:1], v[34:35], v[126:127]
	v_mul_f64 v[62:63], v[174:175], v[94:95]
	;; [unrolled: 1-line block ×4, first 2 shown]
	v_fmac_f64_e32 v[66:67], v[178:179], v[88:89]
	v_fma_f64 v[178:179], v[12:13], v[80:81], -v[218:219]
	v_fma_f64 v[218:219], v[32:33], v[124:125], -v[0:1]
	v_mul_f64 v[0:1], v[190:191], v[122:123]
	v_mul_f64 v[54:55], v[186:187], v[82:83]
	v_fma_f64 v[68:69], v[172:173], v[92:93], -v[62:63]
	v_fma_f64 v[62:63], v[156:157], v[100:101], -v[206:207]
	;; [unrolled: 1-line block ×4, first 2 shown]
	v_mul_f64 v[0:1], v[194:195], v[118:119]
	v_mul_f64 v[204:205], v[184:185], v[82:83]
	v_mul_f64 v[42:43], v[156:157], v[102:103]
	v_fma_f64 v[184:185], v[184:185], v[80:81], -v[54:55]
	v_mul_f64 v[156:157], v[188:189], v[122:123]
	v_fma_f64 v[188:189], v[192:193], v[116:117], -v[0:1]
	v_mul_f64 v[0:1], v[198:199], v[106:107]
	v_fma_f64 v[180:181], v[180:181], v[84:85], -v[56:57]
	v_fmac_f64_e32 v[156:157], v[190:191], v[120:121]
	v_fma_f64 v[190:191], v[196:197], v[104:105], -v[0:1]
	v_add_f64 v[0:1], v[4:5], v[184:185]
	v_fma_f64 v[176:177], v[176:177], v[88:89], -v[60:61]
	v_add_f64 v[0:1], v[0:1], v[180:181]
	v_mul_f64 v[70:71], v[170:171], v[98:99]
	v_add_f64 v[0:1], v[0:1], v[176:177]
	v_mul_f64 v[74:75], v[166:167], v[114:115]
	v_fma_f64 v[60:61], v[168:169], v[96:97], -v[70:71]
	v_add_f64 v[0:1], v[0:1], v[68:69]
	v_mul_f64 v[78:79], v[162:163], v[110:111]
	v_fma_f64 v[54:55], v[164:165], v[112:113], -v[74:75]
	v_add_f64 v[0:1], v[0:1], v[60:61]
	v_fma_f64 v[56:57], v[160:161], v[108:109], -v[78:79]
	v_add_f64 v[0:1], v[0:1], v[54:55]
	v_mul_f64 v[208:209], v[154:155], v[126:127]
	v_add_f64 v[0:1], v[0:1], v[56:57]
	v_mul_f64 v[210:211], v[150:151], v[122:123]
	v_fma_f64 v[70:71], v[152:153], v[124:125], -v[208:209]
	v_add_f64 v[0:1], v[0:1], v[62:63]
	v_mul_f64 v[76:77], v[148:149], v[122:123]
	v_mul_f64 v[44:45], v[12:13], v[82:83]
	v_fmac_f64_e32 v[204:205], v[186:187], v[80:81]
	v_fma_f64 v[148:149], v[148:149], v[120:121], -v[210:211]
	v_fmac_f64_e32 v[216:217], v[30:31], v[104:105]
	v_mul_f64 v[78:79], v[132:133], v[110:111]
	v_add_f64 v[0:1], v[0:1], v[70:71]
	v_mul_f64 v[38:39], v[160:161], v[110:111]
	v_mul_f64 v[222:223], v[18:19], v[90:91]
	;; [unrolled: 1-line block ×3, first 2 shown]
	v_fmac_f64_e32 v[44:45], v[14:15], v[80:81]
	v_fmac_f64_e32 v[78:79], v[134:135], v[108:109]
	v_mul_f64 v[134:135], v[136:137], v[102:103]
	v_add_f64 v[0:1], v[0:1], v[148:149]
	v_add_f64 v[14:15], v[204:205], -v[216:217]
	v_mul_f64 v[40:41], v[168:169], v[98:99]
	v_mul_f64 v[36:37], v[164:165], v[114:115]
	;; [unrolled: 1-line block ×6, first 2 shown]
	v_fmac_f64_e32 v[38:39], v[162:163], v[108:109]
	v_fmac_f64_e32 v[202:203], v[146:147], v[116:117]
	v_fma_f64 v[186:187], v[16:17], v[88:89], -v[222:223]
	v_fma_f64 v[208:209], v[24:25], v[96:97], -v[226:227]
	v_fmac_f64_e32 v[134:135], v[138:139], v[100:101]
	v_mul_f64 v[138:139], v[32:33], v[126:127]
	v_add_f64 v[0:1], v[0:1], v[144:145]
	v_add_f64 v[8:9], v[184:185], v[28:29]
	v_add_f64 v[12:13], v[184:185], -v[28:29]
	v_mul_f64 v[16:17], v[14:15], s[38:39]
	v_mul_f64 v[24:25], v[14:15], s[30:31]
	;; [unrolled: 1-line block ×7, first 2 shown]
	v_fmac_f64_e32 v[40:41], v[170:171], v[96:97]
	v_fmac_f64_e32 v[36:37], v[166:167], v[112:113]
	;; [unrolled: 1-line block ×6, first 2 shown]
	v_fma_f64 v[210:211], v[20:21], v[112:113], -v[228:229]
	v_mul_f64 v[74:75], v[20:21], v[114:115]
	v_fmac_f64_e32 v[138:139], v[34:35], v[124:125]
	v_add_f64 v[0:1], v[0:1], v[28:29]
	v_add_f64 v[10:11], v[204:205], v[216:217]
	v_fma_f64 v[18:19], v[8:9], s[6:7], -v[16:17]
	v_mul_f64 v[20:21], v[12:13], s[38:39]
	v_fmac_f64_e32 v[16:17], s[6:7], v[8:9]
	v_fma_f64 v[26:27], v[8:9], s[16:17], -v[24:25]
	v_mul_f64 v[28:29], v[12:13], s[30:31]
	v_fmac_f64_e32 v[24:25], s[16:17], v[8:9]
	;; [unrolled: 3-line block ×6, first 2 shown]
	v_mul_f64 v[58:59], v[172:173], v[94:95]
	v_fmac_f64_e32 v[64:65], v[154:155], v[124:125]
	v_fmac_f64_e32 v[46:47], v[2:3], v[84:85]
	;; [unrolled: 1-line block ×3, first 2 shown]
	v_add_f64 v[2:3], v[6:7], v[204:205]
	v_add_f64 v[18:19], v[4:5], v[18:19]
	v_fma_f64 v[22:23], s[6:7], v[10:11], v[20:21]
	v_add_f64 v[16:17], v[4:5], v[16:17]
	v_fma_f64 v[20:21], v[10:11], s[6:7], -v[20:21]
	v_add_f64 v[26:27], v[4:5], v[26:27]
	v_fma_f64 v[30:31], s[16:17], v[10:11], v[28:29]
	v_add_f64 v[24:25], v[4:5], v[24:25]
	v_fma_f64 v[28:29], v[10:11], s[16:17], -v[28:29]
	;; [unrolled: 4-line block ×6, first 2 shown]
	v_add_f64 v[14:15], v[72:73], -v[202:203]
	v_add_f64 v[2:3], v[2:3], v[72:73]
	v_add_f64 v[22:23], v[6:7], v[22:23]
	;; [unrolled: 1-line block ×15, first 2 shown]
	v_mul_f64 v[72:73], v[14:15], s[30:31]
	v_add_f64 v[12:13], v[180:181], -v[144:145]
	v_fma_f64 v[144:145], v[8:9], s[16:17], -v[72:73]
	v_add_f64 v[18:19], v[144:145], v[18:19]
	v_mul_f64 v[144:145], v[12:13], s[30:31]
	v_fmac_f64_e32 v[72:73], s[16:17], v[8:9]
	v_add_f64 v[16:17], v[72:73], v[16:17]
	v_fma_f64 v[72:73], v[10:11], s[16:17], -v[144:145]
	v_add_f64 v[20:21], v[72:73], v[20:21]
	v_mul_f64 v[72:73], v[14:15], s[28:29]
	v_fmac_f64_e32 v[58:59], v[174:175], v[92:93]
	v_fma_f64 v[174:175], s[16:17], v[10:11], v[144:145]
	v_fma_f64 v[144:145], v[8:9], s[24:25], -v[72:73]
	v_add_f64 v[26:27], v[144:145], v[26:27]
	v_mul_f64 v[144:145], v[12:13], s[28:29]
	v_fmac_f64_e32 v[72:73], s[24:25], v[8:9]
	v_add_f64 v[24:25], v[72:73], v[24:25]
	v_fma_f64 v[72:73], v[10:11], s[24:25], -v[144:145]
	v_add_f64 v[28:29], v[72:73], v[28:29]
	v_mul_f64 v[72:73], v[14:15], s[36:37]
	v_add_f64 v[22:23], v[174:175], v[22:23]
	v_fma_f64 v[174:175], s[24:25], v[10:11], v[144:145]
	v_fma_f64 v[144:145], v[8:9], s[22:23], -v[72:73]
	v_add_f64 v[34:35], v[144:145], v[34:35]
	v_mul_f64 v[144:145], v[12:13], s[36:37]
	v_fmac_f64_e32 v[72:73], s[22:23], v[8:9]
	v_add_f64 v[32:33], v[72:73], v[32:33]
	v_fma_f64 v[72:73], v[10:11], s[22:23], -v[144:145]
	v_add_f64 v[72:73], v[72:73], v[132:133]
	v_mul_f64 v[132:133], v[14:15], s[44:45]
	v_add_f64 v[30:31], v[174:175], v[30:31]
	v_fma_f64 v[174:175], s[22:23], v[10:11], v[144:145]
	v_fma_f64 v[144:145], v[8:9], s[20:21], -v[132:133]
	v_add_f64 v[2:3], v[2:3], v[66:67]
	v_add_f64 v[144:145], v[144:145], v[150:151]
	v_mul_f64 v[150:151], v[12:13], s[44:45]
	v_fmac_f64_e32 v[132:133], s[20:21], v[8:9]
	v_add_f64 v[2:3], v[2:3], v[58:59]
	v_add_f64 v[136:137], v[174:175], v[136:137]
	v_fma_f64 v[174:175], s[20:21], v[10:11], v[150:151]
	v_add_f64 v[132:133], v[132:133], v[146:147]
	v_fma_f64 v[146:147], v[10:11], s[20:21], -v[150:151]
	v_mul_f64 v[150:151], v[14:15], s[40:41]
	v_add_f64 v[2:3], v[2:3], v[40:41]
	v_add_f64 v[146:147], v[146:147], v[152:153]
	v_fma_f64 v[152:153], v[8:9], s[18:19], -v[150:151]
	v_add_f64 v[2:3], v[2:3], v[36:37]
	v_add_f64 v[152:153], v[152:153], v[164:165]
	v_mul_f64 v[164:165], v[12:13], s[40:41]
	v_fmac_f64_e32 v[150:151], s[18:19], v[8:9]
	v_mul_f64 v[14:15], v[14:15], s[42:43]
	v_fmac_f64_e32 v[42:43], v[158:159], v[100:101]
	v_add_f64 v[2:3], v[2:3], v[38:39]
	v_add_f64 v[154:155], v[174:175], v[154:155]
	v_fma_f64 v[174:175], s[18:19], v[10:11], v[164:165]
	v_add_f64 v[150:151], v[150:151], v[162:163]
	v_fma_f64 v[162:163], v[10:11], s[18:19], -v[164:165]
	v_fma_f64 v[164:165], v[8:9], s[6:7], -v[14:15]
	v_mul_f64 v[12:13], v[12:13], s[42:43]
	v_fmac_f64_e32 v[14:15], s[6:7], v[8:9]
	v_add_f64 v[2:3], v[2:3], v[42:43]
	v_add_f64 v[4:5], v[14:15], v[4:5]
	v_fma_f64 v[8:9], v[10:11], s[6:7], -v[12:13]
	v_add_f64 v[14:15], v[66:67], -v[76:77]
	v_add_f64 v[2:3], v[2:3], v[64:65]
	v_add_f64 v[162:163], v[162:163], v[166:167]
	v_fma_f64 v[166:167], s[6:7], v[10:11], v[12:13]
	v_add_f64 v[6:7], v[8:9], v[6:7]
	v_add_f64 v[8:9], v[176:177], v[148:149]
	;; [unrolled: 1-line block ×3, first 2 shown]
	v_mul_f64 v[66:67], v[14:15], s[26:27]
	v_add_f64 v[2:3], v[2:3], v[76:77]
	v_add_f64 v[12:13], v[176:177], -v[148:149]
	v_fma_f64 v[76:77], v[8:9], s[18:19], -v[66:67]
	v_add_f64 v[18:19], v[76:77], v[18:19]
	v_mul_f64 v[76:77], v[12:13], s[26:27]
	v_fmac_f64_e32 v[66:67], s[18:19], v[8:9]
	v_add_f64 v[16:17], v[66:67], v[16:17]
	v_fma_f64 v[66:67], v[10:11], s[18:19], -v[76:77]
	v_add_f64 v[20:21], v[66:67], v[20:21]
	v_mul_f64 v[66:67], v[14:15], s[36:37]
	v_fma_f64 v[148:149], s[18:19], v[10:11], v[76:77]
	v_fma_f64 v[76:77], v[8:9], s[22:23], -v[66:67]
	v_add_f64 v[26:27], v[76:77], v[26:27]
	v_mul_f64 v[76:77], v[12:13], s[36:37]
	v_fmac_f64_e32 v[66:67], s[22:23], v[8:9]
	v_add_f64 v[24:25], v[66:67], v[24:25]
	v_fma_f64 v[66:67], v[10:11], s[22:23], -v[76:77]
	v_add_f64 v[28:29], v[66:67], v[28:29]
	v_mul_f64 v[66:67], v[14:15], s[46:47]
	v_add_f64 v[22:23], v[148:149], v[22:23]
	v_fma_f64 v[148:149], s[22:23], v[10:11], v[76:77]
	v_fma_f64 v[76:77], v[8:9], s[24:25], -v[66:67]
	v_add_f64 v[34:35], v[76:77], v[34:35]
	v_mul_f64 v[76:77], v[12:13], s[46:47]
	v_fmac_f64_e32 v[66:67], s[24:25], v[8:9]
	v_add_f64 v[32:33], v[66:67], v[32:33]
	v_fma_f64 v[66:67], v[10:11], s[24:25], -v[76:77]
	v_add_f64 v[66:67], v[66:67], v[72:73]
	v_mul_f64 v[72:73], v[14:15], s[42:43]
	v_add_f64 v[30:31], v[148:149], v[30:31]
	v_fma_f64 v[148:149], s[24:25], v[10:11], v[76:77]
	v_fma_f64 v[76:77], v[8:9], s[6:7], -v[72:73]
	v_add_f64 v[76:77], v[76:77], v[144:145]
	v_mul_f64 v[144:145], v[12:13], s[42:43]
	v_fmac_f64_e32 v[72:73], s[6:7], v[8:9]
	v_add_f64 v[136:137], v[148:149], v[136:137]
	v_fma_f64 v[148:149], s[6:7], v[10:11], v[144:145]
	v_add_f64 v[72:73], v[72:73], v[132:133]
	v_fma_f64 v[132:133], v[10:11], s[6:7], -v[144:145]
	v_mul_f64 v[144:145], v[14:15], s[30:31]
	v_add_f64 v[132:133], v[132:133], v[146:147]
	v_fma_f64 v[146:147], v[8:9], s[16:17], -v[144:145]
	v_add_f64 v[146:147], v[146:147], v[152:153]
	v_mul_f64 v[152:153], v[12:13], s[30:31]
	v_fmac_f64_e32 v[144:145], s[16:17], v[8:9]
	v_mul_f64 v[14:15], v[14:15], s[34:35]
	v_add_f64 v[148:149], v[148:149], v[154:155]
	v_fma_f64 v[154:155], s[16:17], v[10:11], v[152:153]
	v_add_f64 v[144:145], v[144:145], v[150:151]
	v_fma_f64 v[150:151], v[10:11], s[16:17], -v[152:153]
	v_fma_f64 v[152:153], v[8:9], s[20:21], -v[14:15]
	v_mul_f64 v[12:13], v[12:13], s[34:35]
	v_fmac_f64_e32 v[14:15], s[20:21], v[8:9]
	v_add_f64 v[4:5], v[14:15], v[4:5]
	v_fma_f64 v[8:9], v[10:11], s[20:21], -v[12:13]
	v_add_f64 v[14:15], v[58:59], -v[64:65]
	v_add_f64 v[150:151], v[150:151], v[162:163]
	v_fma_f64 v[162:163], s[20:21], v[10:11], v[12:13]
	v_add_f64 v[6:7], v[8:9], v[6:7]
	v_add_f64 v[8:9], v[68:69], v[70:71]
	;; [unrolled: 1-line block ×3, first 2 shown]
	v_mul_f64 v[58:59], v[14:15], s[28:29]
	v_add_f64 v[12:13], v[68:69], -v[70:71]
	v_fma_f64 v[64:65], v[8:9], s[24:25], -v[58:59]
	v_add_f64 v[18:19], v[64:65], v[18:19]
	v_mul_f64 v[64:65], v[12:13], s[28:29]
	v_fmac_f64_e32 v[58:59], s[24:25], v[8:9]
	v_add_f64 v[16:17], v[58:59], v[16:17]
	v_fma_f64 v[58:59], v[10:11], s[24:25], -v[64:65]
	v_add_f64 v[20:21], v[58:59], v[20:21]
	v_mul_f64 v[58:59], v[14:15], s[44:45]
	v_fma_f64 v[68:69], s[24:25], v[10:11], v[64:65]
	v_fma_f64 v[64:65], v[8:9], s[20:21], -v[58:59]
	v_add_f64 v[26:27], v[64:65], v[26:27]
	v_mul_f64 v[64:65], v[12:13], s[44:45]
	v_fmac_f64_e32 v[58:59], s[20:21], v[8:9]
	v_add_f64 v[24:25], v[58:59], v[24:25]
	v_fma_f64 v[58:59], v[10:11], s[20:21], -v[64:65]
	v_add_f64 v[28:29], v[58:59], v[28:29]
	v_mul_f64 v[58:59], v[14:15], s[42:43]
	v_add_f64 v[22:23], v[68:69], v[22:23]
	v_fma_f64 v[68:69], s[20:21], v[10:11], v[64:65]
	v_fma_f64 v[64:65], v[8:9], s[6:7], -v[58:59]
	v_add_f64 v[34:35], v[64:65], v[34:35]
	v_mul_f64 v[64:65], v[12:13], s[42:43]
	v_fmac_f64_e32 v[58:59], s[6:7], v[8:9]
	v_add_f64 v[30:31], v[68:69], v[30:31]
	v_fma_f64 v[68:69], s[6:7], v[10:11], v[64:65]
	v_add_f64 v[32:33], v[58:59], v[32:33]
	v_fma_f64 v[58:59], v[10:11], s[6:7], -v[64:65]
	v_mul_f64 v[64:65], v[14:15], s[26:27]
	v_add_f64 v[58:59], v[58:59], v[66:67]
	v_fma_f64 v[66:67], v[8:9], s[18:19], -v[64:65]
	v_mul_f64 v[70:71], v[12:13], s[26:27]
	v_fmac_f64_e32 v[64:65], s[18:19], v[8:9]
	v_add_f64 v[66:67], v[66:67], v[76:77]
	v_fma_f64 v[76:77], s[18:19], v[10:11], v[70:71]
	v_add_f64 v[64:65], v[64:65], v[72:73]
	v_fma_f64 v[70:71], v[10:11], s[18:19], -v[70:71]
	v_mul_f64 v[72:73], v[14:15], s[50:51]
	v_add_f64 v[70:71], v[70:71], v[132:133]
	v_fma_f64 v[132:133], v[8:9], s[22:23], -v[72:73]
	v_fmac_f64_e32 v[72:73], s[22:23], v[8:9]
	v_mul_f64 v[14:15], v[14:15], s[48:49]
	v_add_f64 v[68:69], v[68:69], v[136:137]
	v_mul_f64 v[136:137], v[12:13], s[50:51]
	v_add_f64 v[72:73], v[72:73], v[144:145]
	v_fma_f64 v[144:145], v[8:9], s[16:17], -v[14:15]
	v_mul_f64 v[12:13], v[12:13], s[48:49]
	v_fmac_f64_e32 v[14:15], s[16:17], v[8:9]
	v_add_f64 v[4:5], v[14:15], v[4:5]
	v_fma_f64 v[8:9], v[10:11], s[16:17], -v[12:13]
	v_add_f64 v[14:15], v[40:41], -v[42:43]
	v_add_f64 v[76:77], v[76:77], v[148:149]
	v_add_f64 v[132:133], v[132:133], v[146:147]
	v_fma_f64 v[146:147], s[22:23], v[10:11], v[136:137]
	v_fma_f64 v[136:137], v[10:11], s[22:23], -v[136:137]
	v_fma_f64 v[148:149], s[16:17], v[10:11], v[12:13]
	v_add_f64 v[6:7], v[8:9], v[6:7]
	v_add_f64 v[8:9], v[60:61], v[62:63]
	;; [unrolled: 1-line block ×3, first 2 shown]
	v_mul_f64 v[40:41], v[14:15], s[34:35]
	v_add_f64 v[12:13], v[60:61], -v[62:63]
	v_fma_f64 v[42:43], v[8:9], s[20:21], -v[40:41]
	v_add_f64 v[18:19], v[42:43], v[18:19]
	v_mul_f64 v[42:43], v[12:13], s[34:35]
	v_fmac_f64_e32 v[40:41], s[20:21], v[8:9]
	v_add_f64 v[16:17], v[40:41], v[16:17]
	v_fma_f64 v[40:41], v[10:11], s[20:21], -v[42:43]
	v_add_f64 v[20:21], v[40:41], v[20:21]
	v_mul_f64 v[40:41], v[14:15], s[40:41]
	v_fma_f64 v[60:61], s[20:21], v[10:11], v[42:43]
	v_fma_f64 v[42:43], v[8:9], s[18:19], -v[40:41]
	v_add_f64 v[26:27], v[42:43], v[26:27]
	v_mul_f64 v[42:43], v[12:13], s[40:41]
	v_fmac_f64_e32 v[40:41], s[18:19], v[8:9]
	v_add_f64 v[24:25], v[40:41], v[24:25]
	v_fma_f64 v[40:41], v[10:11], s[18:19], -v[42:43]
	v_add_f64 v[28:29], v[40:41], v[28:29]
	v_mul_f64 v[40:41], v[14:15], s[30:31]
	v_add_f64 v[22:23], v[60:61], v[22:23]
	v_fma_f64 v[60:61], s[18:19], v[10:11], v[42:43]
	v_fma_f64 v[42:43], v[8:9], s[16:17], -v[40:41]
	v_add_f64 v[34:35], v[42:43], v[34:35]
	v_mul_f64 v[42:43], v[12:13], s[30:31]
	v_fmac_f64_e32 v[40:41], s[16:17], v[8:9]
	v_add_f64 v[30:31], v[60:61], v[30:31]
	v_fma_f64 v[60:61], s[16:17], v[10:11], v[42:43]
	v_add_f64 v[32:33], v[40:41], v[32:33]
	v_fma_f64 v[40:41], v[10:11], s[16:17], -v[42:43]
	v_mul_f64 v[42:43], v[14:15], s[50:51]
	v_add_f64 v[40:41], v[40:41], v[58:59]
	v_fma_f64 v[58:59], v[8:9], s[22:23], -v[42:43]
	v_mul_f64 v[62:63], v[12:13], s[50:51]
	v_fmac_f64_e32 v[42:43], s[22:23], v[8:9]
	v_add_f64 v[168:169], v[174:175], v[168:169]
	v_add_f64 v[58:59], v[58:59], v[66:67]
	v_fma_f64 v[66:67], s[22:23], v[10:11], v[62:63]
	v_add_f64 v[42:43], v[42:43], v[64:65]
	v_fma_f64 v[62:63], v[10:11], s[22:23], -v[62:63]
	v_mul_f64 v[64:65], v[14:15], s[42:43]
	v_add_f64 v[164:165], v[164:165], v[170:171]
	v_add_f64 v[154:155], v[154:155], v[168:169]
	;; [unrolled: 1-line block ×4, first 2 shown]
	v_fma_f64 v[68:69], v[8:9], s[6:7], -v[64:65]
	v_mul_f64 v[70:71], v[12:13], s[42:43]
	v_fmac_f64_e32 v[64:65], s[6:7], v[8:9]
	v_mul_f64 v[14:15], v[14:15], s[28:29]
	v_add_f64 v[152:153], v[152:153], v[164:165]
	v_add_f64 v[146:147], v[146:147], v[154:155]
	;; [unrolled: 1-line block ×4, first 2 shown]
	v_fma_f64 v[76:77], s[6:7], v[10:11], v[70:71]
	v_add_f64 v[64:65], v[64:65], v[72:73]
	v_fma_f64 v[70:71], v[10:11], s[6:7], -v[70:71]
	v_fma_f64 v[72:73], v[8:9], s[24:25], -v[14:15]
	v_mul_f64 v[12:13], v[12:13], s[28:29]
	v_fmac_f64_e32 v[14:15], s[24:25], v[8:9]
	v_add_f64 v[144:145], v[144:145], v[152:153]
	v_add_f64 v[76:77], v[76:77], v[146:147]
	;; [unrolled: 1-line block ×4, first 2 shown]
	v_fma_f64 v[4:5], v[10:11], s[24:25], -v[12:13]
	v_add_f64 v[146:147], v[54:55], v[56:57]
	v_add_f64 v[54:55], v[54:55], -v[56:57]
	v_add_f64 v[56:57], v[36:37], -v[38:39]
	v_add_f64 v[72:73], v[72:73], v[144:145]
	v_add_f64 v[144:145], v[4:5], v[6:7]
	v_mul_f64 v[4:5], v[56:57], s[36:37]
	v_fma_f64 v[6:7], v[146:147], s[22:23], -v[4:5]
	v_add_f64 v[68:69], v[68:69], v[132:133]
	v_fma_f64 v[132:133], s[24:25], v[10:11], v[12:13]
	v_add_f64 v[154:155], v[36:37], v[38:39]
	v_add_f64 v[12:13], v[6:7], v[18:19]
	v_mul_f64 v[6:7], v[54:55], s[36:37]
	v_fma_f64 v[8:9], s[22:23], v[154:155], v[6:7]
	v_add_f64 v[14:15], v[8:9], v[22:23]
	v_mul_f64 v[8:9], v[56:57], s[42:43]
	v_fma_f64 v[6:7], v[154:155], s[22:23], -v[6:7]
	v_fma_f64 v[10:11], v[146:147], s[6:7], -v[8:9]
	v_fmac_f64_e32 v[4:5], s[22:23], v[146:147]
	v_add_f64 v[6:7], v[6:7], v[20:21]
	v_add_f64 v[20:21], v[10:11], v[26:27]
	v_mul_f64 v[10:11], v[54:55], s[42:43]
	v_add_f64 v[4:5], v[4:5], v[16:17]
	v_fma_f64 v[16:17], s[6:7], v[154:155], v[10:11]
	v_add_f64 v[22:23], v[16:17], v[30:31]
	v_mul_f64 v[16:17], v[56:57], s[34:35]
	v_fma_f64 v[10:11], v[154:155], s[6:7], -v[10:11]
	v_fma_f64 v[18:19], v[146:147], s[20:21], -v[16:17]
	v_add_f64 v[166:167], v[166:167], v[172:173]
	v_fmac_f64_e32 v[8:9], s[6:7], v[146:147]
	v_add_f64 v[10:11], v[10:11], v[28:29]
	v_add_f64 v[28:29], v[18:19], v[34:35]
	v_mul_f64 v[18:19], v[54:55], s[34:35]
	v_add_f64 v[162:163], v[162:163], v[166:167]
	v_add_f64 v[8:9], v[8:9], v[24:25]
	v_fma_f64 v[24:25], s[20:21], v[154:155], v[18:19]
	v_mul_f64 v[36:37], v[56:57], s[28:29]
	v_add_f64 v[148:149], v[148:149], v[162:163]
	v_add_f64 v[30:31], v[24:25], v[60:61]
	v_mul_f64 v[24:25], v[56:57], s[48:49]
	v_fma_f64 v[38:39], v[146:147], s[24:25], -v[36:37]
	v_mul_f64 v[160:161], v[196:197], v[106:107]
	v_add_f64 v[132:133], v[132:133], v[148:149]
	v_fmac_f64_e32 v[16:17], s[20:21], v[146:147]
	v_fma_f64 v[18:19], v[154:155], s[20:21], -v[18:19]
	v_fma_f64 v[26:27], v[146:147], s[16:17], -v[24:25]
	v_add_f64 v[148:149], v[38:39], v[68:69]
	v_mul_f64 v[38:39], v[54:55], s[28:29]
	v_mul_f64 v[158:159], v[192:193], v[118:119]
	v_fmac_f64_e32 v[160:161], v[198:199], v[104:105]
	v_add_f64 v[16:17], v[16:17], v[32:33]
	v_add_f64 v[18:19], v[18:19], v[40:41]
	;; [unrolled: 1-line block ×3, first 2 shown]
	v_mul_f64 v[26:27], v[54:55], s[48:49]
	v_fmac_f64_e32 v[24:25], s[16:17], v[146:147]
	v_fma_f64 v[40:41], s[24:25], v[154:155], v[38:39]
	v_fma_f64 v[38:39], v[154:155], s[24:25], -v[38:39]
	v_mul_f64 v[54:55], v[54:55], s[40:41]
	v_fmac_f64_e32 v[158:159], v[194:195], v[116:117]
	v_add_f64 v[24:25], v[24:25], v[42:43]
	v_add_f64 v[38:39], v[38:39], v[70:71]
	v_mul_f64 v[56:57], v[56:57], s[40:41]
	v_fma_f64 v[42:43], s[18:19], v[154:155], v[54:55]
	v_fma_f64 v[54:55], v[154:155], s[18:19], -v[54:55]
	v_add_f64 v[70:71], v[44:45], -v[160:161]
	v_add_f64 v[2:3], v[2:3], v[202:203]
	v_fma_f64 v[34:35], s[16:17], v[154:155], v[26:27]
	v_fma_f64 v[26:27], v[154:155], s[16:17], -v[26:27]
	v_add_f64 v[150:151], v[40:41], v[76:77]
	v_fmac_f64_e32 v[36:37], s[24:25], v[146:147]
	v_fma_f64 v[40:41], v[146:147], s[18:19], -v[56:57]
	v_fmac_f64_e32 v[56:57], s[18:19], v[146:147]
	v_add_f64 v[154:155], v[54:55], v[144:145]
	v_add_f64 v[60:61], v[178:179], -v[190:191]
	v_mul_f64 v[54:55], v[70:71], s[38:39]
	v_add_f64 v[202:203], v[46:47], -v[158:159]
	v_add_f64 v[36:37], v[36:37], v[64:65]
	v_add_f64 v[152:153], v[56:57], v[136:137]
	;; [unrolled: 1-line block ×3, first 2 shown]
	v_mul_f64 v[56:57], v[60:61], s[38:39]
	v_accvgpr_write_b32 a157, v55
	v_mul_f64 v[64:65], v[202:203], s[30:31]
	v_add_f64 v[248:249], v[44:45], v[160:161]
	v_accvgpr_write_b32 a156, v54
	v_fma_f64 v[54:55], s[6:7], v[246:247], v[54:55]
	v_accvgpr_write_b32 a159, v57
	v_add_f64 v[226:227], v[182:183], v[188:189]
	v_add_f64 v[76:77], v[182:183], -v[188:189]
	v_accvgpr_write_b32 a163, v65
	v_add_f64 v[34:35], v[34:35], v[66:67]
	v_add_f64 v[54:55], v[140:141], v[54:55]
	v_accvgpr_write_b32 a158, v56
	v_fma_f64 v[56:57], v[248:249], s[6:7], -v[56:57]
	v_add_f64 v[232:233], v[46:47], v[158:159]
	v_mul_f64 v[66:67], v[76:77], s[30:31]
	v_accvgpr_write_b32 a162, v64
	v_fma_f64 v[64:65], s[16:17], v[226:227], v[64:65]
	v_add_f64 v[56:57], v[142:143], v[56:57]
	v_mul_f64 v[58:59], v[70:71], s[30:31]
	v_add_f64 v[54:55], v[64:65], v[54:55]
	v_fma_f64 v[64:65], v[232:233], s[16:17], -v[66:67]
	v_add_f64 v[26:27], v[26:27], v[62:63]
	v_mul_f64 v[62:63], v[60:61], s[30:31]
	v_accvgpr_write_b32 a161, v59
	v_add_f64 v[56:57], v[64:65], v[56:57]
	v_mul_f64 v[64:65], v[202:203], s[28:29]
	v_accvgpr_write_b32 a160, v58
	v_fma_f64 v[58:59], s[16:17], v[246:247], v[58:59]
	v_accvgpr_write_b32 a165, v63
	v_accvgpr_write_b32 a171, v67
	v_accvgpr_write_b32 a173, v65
	v_add_f64 v[58:59], v[140:141], v[58:59]
	v_accvgpr_write_b32 a164, v62
	v_fma_f64 v[62:63], v[248:249], s[16:17], -v[62:63]
	v_accvgpr_write_b32 a170, v66
	v_mul_f64 v[66:67], v[76:77], s[28:29]
	v_accvgpr_write_b32 a172, v64
	v_fma_f64 v[64:65], s[24:25], v[226:227], v[64:65]
	v_add_f64 v[62:63], v[142:143], v[62:63]
	v_add_f64 v[58:59], v[64:65], v[58:59]
	v_fma_f64 v[64:65], v[232:233], s[24:25], -v[66:67]
	v_add_f64 v[176:177], v[48:49], -v[156:157]
	v_add_f64 v[62:63], v[64:65], v[62:63]
	v_mul_f64 v[64:65], v[176:177], s[26:27]
	v_accvgpr_write_b32 a177, v67
	v_add_f64 v[220:221], v[186:187], v[224:225]
	v_add_f64 v[164:165], v[186:187], -v[224:225]
	v_accvgpr_write_b32 a175, v65
	v_accvgpr_write_b32 a176, v66
	v_add_f64 v[222:223], v[48:49], v[156:157]
	v_mul_f64 v[66:67], v[164:165], s[26:27]
	v_accvgpr_write_b32 a174, v64
	v_fma_f64 v[64:65], s[18:19], v[220:221], v[64:65]
	v_add_f64 v[54:55], v[64:65], v[54:55]
	v_fma_f64 v[64:65], v[222:223], s[18:19], -v[66:67]
	v_add_f64 v[254:255], v[50:51], -v[138:139]
	v_accvgpr_write_b32 a128, v178
	v_accvgpr_write_b32 a146, v224
	v_add_f64 v[56:57], v[64:65], v[56:57]
	v_mul_f64 v[64:65], v[254:255], s[28:29]
	v_accvgpr_write_b32 a129, v179
	v_accvgpr_write_b32 a147, v225
	;; [unrolled: 1-line block ×3, first 2 shown]
	v_add_f64 v[224:225], v[206:207], v[218:219]
	v_add_f64 v[178:179], v[206:207], -v[218:219]
	v_accvgpr_write_b32 a183, v65
	v_accvgpr_write_b32 a178, v66
	v_add_f64 v[230:231], v[50:51], v[138:139]
	v_mul_f64 v[66:67], v[178:179], s[28:29]
	v_accvgpr_write_b32 a182, v64
	v_fma_f64 v[64:65], s[24:25], v[224:225], v[64:65]
	v_add_f64 v[54:55], v[64:65], v[54:55]
	v_fma_f64 v[64:65], v[230:231], s[24:25], -v[66:67]
	v_add_f64 v[184:185], v[52:53], -v[134:135]
	v_accvgpr_write_b32 a134, v206
	v_add_f64 v[56:57], v[64:65], v[56:57]
	v_mul_f64 v[64:65], v[184:185], s[34:35]
	v_accvgpr_write_b32 a135, v207
	v_accvgpr_write_b32 a185, v67
	v_add_f64 v[234:235], v[208:209], v[214:215]
	v_add_f64 v[206:207], v[208:209], -v[214:215]
	v_accvgpr_write_b32 a187, v65
	v_accvgpr_write_b32 a184, v66
	v_add_f64 v[236:237], v[52:53], v[134:135]
	v_mul_f64 v[66:67], v[206:207], s[34:35]
	v_accvgpr_write_b32 a186, v64
	v_fma_f64 v[64:65], s[20:21], v[234:235], v[64:65]
	v_add_f64 v[54:55], v[64:65], v[54:55]
	v_fma_f64 v[64:65], v[236:237], s[20:21], -v[66:67]
	v_add_f64 v[194:195], v[74:75], -v[78:79]
	v_accvgpr_write_b32 a154, v190
	v_add_f64 v[56:57], v[64:65], v[56:57]
	v_mul_f64 v[64:65], v[194:195], s[36:37]
	v_accvgpr_write_b32 a155, v191
	v_accvgpr_write_b32 a189, v67
	v_add_f64 v[242:243], v[210:211], v[212:213]
	v_add_f64 v[190:191], v[210:211], -v[212:213]
	v_accvgpr_write_b32 a191, v65
	v_accvgpr_write_b32 a188, v66
	v_add_f64 v[244:245], v[74:75], v[78:79]
	v_mul_f64 v[66:67], v[190:191], s[36:37]
	v_accvgpr_write_b32 a190, v64
	v_fma_f64 v[64:65], s[22:23], v[242:243], v[64:65]
	v_mul_f64 v[68:69], v[176:177], s[36:37]
	v_add_f64 v[64:65], v[64:65], v[54:55]
	v_accvgpr_write_b32 a193, v67
	v_fma_f64 v[54:55], v[244:245], s[22:23], -v[66:67]
	v_accvgpr_write_b32 a192, v66
	v_add_f64 v[66:67], v[54:55], v[56:57]
	v_fma_f64 v[54:55], s[22:23], v[220:221], v[68:69]
	v_add_f64 v[54:55], v[54:55], v[58:59]
	v_mul_f64 v[58:59], v[254:255], s[44:45]
	v_accvgpr_write_b32 a197, v59
	v_mul_f64 v[56:57], v[164:165], s[36:37]
	v_accvgpr_write_b32 a196, v58
	v_fma_f64 v[58:59], s[20:21], v[224:225], v[58:59]
	v_accvgpr_write_b32 a195, v57
	v_add_f64 v[54:55], v[58:59], v[54:55]
	v_mul_f64 v[58:59], v[178:179], s[44:45]
	v_accvgpr_write_b32 a194, v56
	v_fma_f64 v[56:57], v[222:223], s[22:23], -v[56:57]
	v_accvgpr_write_b32 a203, v59
	v_add_f64 v[56:57], v[56:57], v[62:63]
	v_accvgpr_write_b32 a202, v58
	v_fma_f64 v[58:59], v[230:231], s[20:21], -v[58:59]
	v_add_f64 v[56:57], v[58:59], v[56:57]
	v_mul_f64 v[58:59], v[184:185], s[40:41]
	v_accvgpr_write_b32 a199, v59
	v_accvgpr_write_b32 a198, v58
	v_fma_f64 v[58:59], s[18:19], v[234:235], v[58:59]
	v_add_f64 v[54:55], v[58:59], v[54:55]
	v_mul_f64 v[58:59], v[206:207], s[40:41]
	v_accvgpr_write_b32 a205, v59
	v_accvgpr_write_b32 a204, v58
	v_fma_f64 v[58:59], v[236:237], s[18:19], -v[58:59]
	v_add_f64 v[56:57], v[58:59], v[56:57]
	v_mul_f64 v[58:59], v[194:195], s[42:43]
	v_accvgpr_write_b32 a201, v59
	v_accvgpr_write_b32 a200, v58
	v_fma_f64 v[58:59], s[6:7], v[242:243], v[58:59]
	v_add_f64 v[62:63], v[58:59], v[54:55]
	v_mul_f64 v[54:55], v[190:191], s[42:43]
	v_accvgpr_write_b32 a207, v55
	v_accvgpr_write_b32 a113, v67
	;; [unrolled: 1-line block ×3, first 2 shown]
	v_fma_f64 v[54:55], v[244:245], s[6:7], -v[54:55]
	v_accvgpr_write_b32 a112, v66
	v_accvgpr_write_b32 a111, v65
	;; [unrolled: 1-line block ×3, first 2 shown]
	v_add_f64 v[64:65], v[54:55], v[56:57]
	v_mul_f64 v[54:55], v[70:71], s[26:27]
	v_accvgpr_write_b32 a209, v55
	v_mul_f64 v[56:57], v[202:203], s[36:37]
	v_accvgpr_write_b32 a208, v54
	v_fma_f64 v[54:55], s[18:19], v[246:247], v[54:55]
	v_accvgpr_write_b32 a211, v57
	v_add_f64 v[54:55], v[140:141], v[54:55]
	v_accvgpr_write_b32 a210, v56
	v_fma_f64 v[56:57], s[22:23], v[226:227], v[56:57]
	v_mul_f64 v[240:241], v[60:61], s[26:27]
	v_add_f64 v[54:55], v[56:57], v[54:55]
	v_fma_f64 v[56:57], v[248:249], s[18:19], -v[240:241]
	v_mul_f64 v[168:169], v[76:77], s[36:37]
	v_add_f64 v[56:57], v[142:143], v[56:57]
	v_fma_f64 v[58:59], v[232:233], s[22:23], -v[168:169]
	v_add_f64 v[56:57], v[58:59], v[56:57]
	v_mul_f64 v[58:59], v[176:177], s[46:47]
	v_accvgpr_write_b32 a213, v59
	v_accvgpr_write_b32 a212, v58
	v_fma_f64 v[58:59], s[24:25], v[220:221], v[58:59]
	v_accvgpr_write_b32 a117, v65
	v_add_f64 v[58:59], v[58:59], v[54:55]
	v_mul_f64 v[54:55], v[164:165], s[46:47]
	v_accvgpr_write_b32 a116, v64
	v_accvgpr_write_b32 a115, v63
	;; [unrolled: 1-line block ×3, first 2 shown]
	v_fma_f64 v[62:63], v[222:223], s[24:25], -v[54:55]
	v_mul_f64 v[250:251], v[254:255], s[42:43]
	v_add_f64 v[56:57], v[62:63], v[56:57]
	v_fma_f64 v[62:63], s[6:7], v[224:225], v[250:251]
	v_add_f64 v[62:63], v[62:63], v[58:59]
	v_mul_f64 v[58:59], v[178:179], s[42:43]
	v_fma_f64 v[64:65], v[230:231], s[6:7], -v[58:59]
	v_mul_f64 v[170:171], v[184:185], s[30:31]
	v_add_f64 v[56:57], v[64:65], v[56:57]
	v_fma_f64 v[64:65], s[16:17], v[234:235], v[170:171]
	v_add_f64 v[64:65], v[64:65], v[62:63]
	v_mul_f64 v[62:63], v[206:207], s[30:31]
	v_fma_f64 v[66:67], v[236:237], s[16:17], -v[62:63]
	v_accvgpr_write_b32 a181, v69
	v_add_f64 v[66:67], v[66:67], v[56:57]
	v_mul_f64 v[56:57], v[194:195], s[34:35]
	v_accvgpr_write_b32 a180, v68
	v_fma_f64 v[68:69], s[20:21], v[242:243], v[56:57]
	v_add_f64 v[172:173], v[68:69], v[64:65]
	v_mul_f64 v[64:65], v[190:191], s[34:35]
	v_fma_f64 v[68:69], v[244:245], s[20:21], -v[64:65]
	v_add_f64 v[174:175], v[68:69], v[66:67]
	v_mul_f64 v[66:67], v[70:71], s[28:29]
	v_fma_f64 v[68:69], s[24:25], v[246:247], v[66:67]
	v_add_f64 v[40:41], v[40:41], v[72:73]
	v_add_f64 v[72:73], v[140:141], v[68:69]
	v_mul_f64 v[68:69], v[202:203], s[44:45]
	v_add_f64 v[42:43], v[42:43], v[132:133]
	v_accvgpr_write_b32 a118, v172
	v_fma_f64 v[132:133], s[20:21], v[226:227], v[68:69]
	v_mul_f64 v[166:167], v[60:61], s[28:29]
	v_accvgpr_write_b32 a119, v173
	v_accvgpr_write_b32 a120, v174
	;; [unrolled: 1-line block ×3, first 2 shown]
	v_add_f64 v[72:73], v[132:133], v[72:73]
	v_fma_f64 v[132:133], v[248:249], s[24:25], -v[166:167]
	v_mul_f64 v[172:173], v[76:77], s[44:45]
	v_add_f64 v[132:133], v[142:143], v[132:133]
	v_fma_f64 v[136:137], v[232:233], s[20:21], -v[172:173]
	v_add_f64 v[136:137], v[136:137], v[132:133]
	v_mul_f64 v[132:133], v[176:177], s[42:43]
	v_fma_f64 v[162:163], s[6:7], v[220:221], v[132:133]
	v_mul_f64 v[174:175], v[164:165], s[42:43]
	v_add_f64 v[72:73], v[162:163], v[72:73]
	v_fma_f64 v[162:163], v[222:223], s[6:7], -v[174:175]
	v_add_f64 v[162:163], v[162:163], v[136:137]
	v_mul_f64 v[136:137], v[254:255], s[26:27]
	v_fma_f64 v[180:181], s[18:19], v[224:225], v[136:137]
	v_accvgpr_write_b32 a130, v182
	v_add_f64 v[72:73], v[180:181], v[72:73]
	v_mul_f64 v[180:181], v[178:179], s[26:27]
	v_accvgpr_write_b32 a131, v183
	v_accvgpr_write_b32 a132, v186
	v_fma_f64 v[182:183], v[230:231], s[18:19], -v[180:181]
	v_accvgpr_write_b32 a133, v187
	v_add_f64 v[186:187], v[182:183], v[162:163]
	v_mul_f64 v[162:163], v[184:185], s[50:51]
	v_fma_f64 v[182:183], s[22:23], v[234:235], v[162:163]
	v_accvgpr_write_b32 a148, v188
	v_add_f64 v[72:73], v[182:183], v[72:73]
	v_mul_f64 v[182:183], v[206:207], s[50:51]
	v_accvgpr_write_b32 a149, v189
	v_fma_f64 v[188:189], v[236:237], s[22:23], -v[182:183]
	v_mul_f64 v[204:205], v[194:195], s[48:49]
	v_add_f64 v[186:187], v[188:189], v[186:187]
	v_fma_f64 v[188:189], s[16:17], v[242:243], v[204:205]
	v_mul_f64 v[252:253], v[190:191], s[48:49]
	v_add_f64 v[196:197], v[188:189], v[72:73]
	v_fma_f64 v[72:73], v[244:245], s[16:17], -v[252:253]
	v_add_f64 v[198:199], v[72:73], v[186:187]
	v_mul_f64 v[186:187], v[70:71], s[34:35]
	v_accvgpr_write_b32 a138, v210
	v_fma_f64 v[72:73], s[20:21], v[246:247], v[186:187]
	v_mul_f64 v[188:189], v[202:203], s[40:41]
	v_accvgpr_write_b32 a139, v211
	v_accvgpr_write_b32 a140, v212
	v_add_f64 v[72:73], v[140:141], v[72:73]
	v_fma_f64 v[192:193], s[18:19], v[226:227], v[188:189]
	v_mul_f64 v[210:211], v[60:61], s[34:35]
	v_accvgpr_write_b32 a141, v213
	v_accvgpr_write_b32 a122, v196
	v_add_f64 v[72:73], v[192:193], v[72:73]
	v_fma_f64 v[192:193], v[248:249], s[20:21], -v[210:211]
	v_mul_f64 v[212:213], v[76:77], s[40:41]
	v_accvgpr_write_b32 a123, v197
	v_accvgpr_write_b32 a124, v198
	;; [unrolled: 1-line block ×3, first 2 shown]
	v_add_f64 v[192:193], v[142:143], v[192:193]
	v_fma_f64 v[196:197], v[232:233], s[18:19], -v[212:213]
	v_add_f64 v[196:197], v[196:197], v[192:193]
	v_mul_f64 v[192:193], v[176:177], s[30:31]
	v_fma_f64 v[198:199], s[16:17], v[220:221], v[192:193]
	v_accvgpr_write_b32 a136, v208
	v_add_f64 v[198:199], v[198:199], v[72:73]
	v_mul_f64 v[72:73], v[164:165], s[30:31]
	v_accvgpr_write_b32 a137, v209
	v_fma_f64 v[208:209], v[222:223], s[16:17], -v[72:73]
	v_accvgpr_write_b32 a142, v214
	v_add_f64 v[208:209], v[208:209], v[196:197]
	v_mul_f64 v[196:197], v[254:255], s[50:51]
	v_accvgpr_write_b32 a143, v215
	v_fma_f64 v[214:215], s[22:23], v[224:225], v[196:197]
	v_add_f64 v[2:3], v[2:3], v[216:217]
	v_add_f64 v[216:217], v[214:215], v[198:199]
	v_mul_f64 v[214:215], v[178:179], s[50:51]
	v_fma_f64 v[198:199], v[230:231], s[22:23], -v[214:215]
	v_accvgpr_write_b32 a144, v218
	v_add_f64 v[208:209], v[198:199], v[208:209]
	v_mul_f64 v[198:199], v[184:185], s[42:43]
	v_accvgpr_write_b32 a145, v219
	v_fma_f64 v[218:219], s[6:7], v[234:235], v[198:199]
	v_add_f64 v[218:219], v[218:219], v[216:217]
	v_mul_f64 v[216:217], v[206:207], s[42:43]
	v_fma_f64 v[228:229], v[236:237], s[6:7], -v[216:217]
	v_add_f64 v[228:229], v[228:229], v[208:209]
	v_mul_f64 v[208:209], v[194:195], s[28:29]
	v_fma_f64 v[238:239], s[24:25], v[242:243], v[208:209]
	v_add_f64 v[144:145], v[238:239], v[218:219]
	v_mul_f64 v[218:219], v[190:191], s[28:29]
	v_fma_f64 v[238:239], v[244:245], s[24:25], -v[218:219]
	v_add_f64 v[146:147], v[238:239], v[228:229]
	v_accvgpr_read_b32 v228, a2
	v_accvgpr_write_b32 a169, v147
	v_lshrrev_b32_e32 v201, 2, v228
	v_accvgpr_write_b32 a168, v146
	v_accvgpr_write_b32 a167, v145
	;; [unrolled: 1-line block ×3, first 2 shown]
	v_mul_u32_u24_e32 v201, 52, v201
	v_accvgpr_read_b32 v144, a3
	v_or_b32_e32 v201, v201, v144
	v_lshlrev_b32_e32 v201, 4, v201
	ds_write_b128 v201, v[0:3]
	ds_write_b128 v201, v[12:15] offset:64
	ds_write_b128 v201, v[20:23] offset:128
	;; [unrolled: 1-line block ×12, first 2 shown]
	v_accvgpr_read_b32 v0, a108
	v_lshrrev_b32_e32 v0, 2, v0
	v_accvgpr_write_b32 a108, v0
	s_and_saveexec_b64 s[52:53], s[2:3]
	s_cbranch_execz .LBB0_15
; %bb.14:
	v_mul_f64 v[14:15], v[248:249], s[22:23]
	v_mul_f64 v[6:7], v[232:233], s[6:7]
	v_fma_f64 v[2:3], s[50:51], v[60:61], v[14:15]
	v_mul_f64 v[4:5], v[222:223], s[20:21]
	v_fma_f64 v[0:1], s[38:39], v[76:77], v[6:7]
	v_add_f64 v[2:3], v[142:143], v[2:3]
	v_add_f64 v[0:1], v[0:1], v[2:3]
	v_fma_f64 v[2:3], s[44:45], v[164:165], v[4:5]
	v_mul_f64 v[18:19], v[230:231], s[16:17]
	v_add_f64 v[0:1], v[2:3], v[0:1]
	v_fma_f64 v[2:3], s[30:31], v[178:179], v[18:19]
	v_mul_f64 v[20:21], v[236:237], s[24:25]
	v_add_f64 v[0:1], v[2:3], v[0:1]
	v_fma_f64 v[2:3], s[46:47], v[206:207], v[20:21]
	v_mul_f64 v[24:25], v[70:71], s[36:37]
	v_fmac_f64_e32 v[14:15], s[36:37], v[60:61]
	v_add_f64 v[0:1], v[2:3], v[0:1]
	v_mul_f64 v[22:23], v[202:203], s[42:43]
	v_fma_f64 v[2:3], s[22:23], v[246:247], v[24:25]
	v_fmac_f64_e32 v[6:7], s[42:43], v[76:77]
	v_add_f64 v[14:15], v[142:143], v[14:15]
	v_add_f64 v[2:3], v[140:141], v[2:3]
	v_fma_f64 v[8:9], s[6:7], v[226:227], v[22:23]
	v_mul_f64 v[26:27], v[176:177], s[34:35]
	v_fmac_f64_e32 v[4:5], s[34:35], v[164:165]
	v_add_f64 v[6:7], v[6:7], v[14:15]
	v_fma_f64 v[14:15], v[246:247], s[22:23], -v[24:25]
	v_add_f64 v[2:3], v[8:9], v[2:3]
	v_fma_f64 v[8:9], s[20:21], v[220:221], v[26:27]
	v_mul_f64 v[28:29], v[254:255], s[48:49]
	v_fmac_f64_e32 v[18:19], s[48:49], v[178:179]
	v_add_f64 v[4:5], v[4:5], v[6:7]
	v_fma_f64 v[6:7], v[226:227], s[6:7], -v[22:23]
	v_add_f64 v[14:15], v[140:141], v[14:15]
	v_add_f64 v[2:3], v[8:9], v[2:3]
	v_fma_f64 v[8:9], s[16:17], v[224:225], v[28:29]
	v_mul_f64 v[30:31], v[184:185], s[28:29]
	v_fmac_f64_e32 v[20:21], s[28:29], v[206:207]
	v_add_f64 v[4:5], v[18:19], v[4:5]
	v_add_f64 v[6:7], v[6:7], v[14:15]
	v_fma_f64 v[14:15], v[220:221], s[20:21], -v[26:27]
	v_add_f64 v[2:3], v[8:9], v[2:3]
	v_fma_f64 v[8:9], s[24:25], v[234:235], v[30:31]
	v_mul_f64 v[32:33], v[244:245], s[18:19]
	v_add_f64 v[4:5], v[20:21], v[4:5]
	v_mul_f64 v[20:21], v[248:249], s[20:21]
	v_add_f64 v[6:7], v[14:15], v[6:7]
	v_fma_f64 v[24:25], v[224:225], s[16:17], -v[28:29]
	v_add_f64 v[8:9], v[8:9], v[2:3]
	v_fma_f64 v[2:3], s[26:27], v[190:191], v[32:33]
	v_mul_f64 v[34:35], v[194:195], s[40:41]
	v_fmac_f64_e32 v[32:33], s[40:41], v[190:191]
	v_mul_f64 v[18:19], v[246:247], s[20:21]
	v_add_f64 v[6:7], v[24:25], v[6:7]
	v_fma_f64 v[24:25], v[234:235], s[24:25], -v[30:31]
	v_mul_f64 v[60:61], v[232:233], s[18:19]
	v_add_f64 v[20:21], v[210:211], v[20:21]
	v_add_f64 v[2:3], v[2:3], v[0:1]
	v_fma_f64 v[0:1], s[18:19], v[242:243], v[34:35]
	v_add_f64 v[24:25], v[24:25], v[6:7]
	v_add_f64 v[6:7], v[32:33], v[4:5]
	v_fma_f64 v[4:5], v[242:243], s[18:19], -v[34:35]
	v_mul_f64 v[34:35], v[222:223], s[16:17]
	v_add_f64 v[60:61], v[212:213], v[60:61]
	v_add_f64 v[20:21], v[142:143], v[20:21]
	v_mul_f64 v[148:149], v[226:227], s[18:19]
	v_add_f64 v[18:19], v[18:19], -v[186:187]
	v_mul_f64 v[28:29], v[230:231], s[22:23]
	v_add_f64 v[34:35], v[72:73], v[34:35]
	v_add_f64 v[20:21], v[60:61], v[20:21]
	v_mul_f64 v[154:155], v[220:221], s[16:17]
	v_add_f64 v[148:149], v[148:149], -v[188:189]
	v_add_f64 v[18:19], v[140:141], v[18:19]
	v_mul_f64 v[22:23], v[248:249], s[24:25]
	v_mul_f64 v[26:27], v[236:237], s[6:7]
	v_add_f64 v[28:29], v[214:215], v[28:29]
	v_add_f64 v[20:21], v[34:35], v[20:21]
	v_mul_f64 v[152:153], v[224:225], s[22:23]
	v_add_f64 v[154:155], v[154:155], -v[192:193]
	v_add_f64 v[18:19], v[148:149], v[18:19]
	v_add_f64 v[26:27], v[216:217], v[26:27]
	v_mul_f64 v[76:77], v[232:233], s[20:21]
	v_add_f64 v[20:21], v[28:29], v[20:21]
	v_mul_f64 v[28:29], v[234:235], s[6:7]
	v_add_f64 v[152:153], v[152:153], -v[196:197]
	v_add_f64 v[18:19], v[154:155], v[18:19]
	v_add_f64 v[22:23], v[166:167], v[22:23]
	;; [unrolled: 1-line block ×3, first 2 shown]
	v_mul_f64 v[26:27], v[242:243], s[24:25]
	v_add_f64 v[28:29], v[28:29], -v[198:199]
	v_mul_f64 v[186:187], v[222:223], s[6:7]
	v_add_f64 v[18:19], v[152:153], v[18:19]
	v_add_f64 v[76:77], v[172:173], v[76:77]
	;; [unrolled: 1-line block ×4, first 2 shown]
	v_mul_f64 v[24:25], v[244:245], s[24:25]
	v_add_f64 v[26:27], v[26:27], -v[208:209]
	v_add_f64 v[18:19], v[28:29], v[18:19]
	v_mul_f64 v[28:29], v[230:231], s[18:19]
	v_add_f64 v[174:175], v[174:175], v[186:187]
	v_add_f64 v[22:23], v[76:77], v[22:23]
	v_mul_f64 v[40:41], v[246:247], s[24:25]
	v_add_f64 v[24:25], v[218:219], v[24:25]
	;; [unrolled: 3-line block ×4, first 2 shown]
	v_mul_f64 v[24:25], v[244:245], s[16:17]
	v_add_f64 v[26:27], v[182:183], v[26:27]
	v_add_f64 v[22:23], v[28:29], v[22:23]
	v_add_f64 v[40:41], v[40:41], -v[66:67]
	v_mul_f64 v[38:39], v[248:249], s[18:19]
	v_mul_f64 v[184:185], v[220:221], s[6:7]
	v_add_f64 v[24:25], v[252:253], v[24:25]
	v_add_f64 v[22:23], v[26:27], v[22:23]
	v_add_f64 v[60:61], v[60:61], -v[68:69]
	v_add_f64 v[40:41], v[140:141], v[40:41]
	v_mul_f64 v[72:73], v[232:233], s[22:23]
	v_mul_f64 v[182:183], v[230:231], s[6:7]
	v_add_f64 v[24:25], v[24:25], v[22:23]
	v_add_f64 v[22:23], v[184:185], -v[132:133]
	v_add_f64 v[40:41], v[60:61], v[40:41]
	v_add_f64 v[38:39], v[240:241], v[38:39]
	v_mul_f64 v[148:149], v[222:223], s[24:25]
	v_mul_f64 v[192:193], v[224:225], s[18:19]
	v_add_f64 v[22:23], v[22:23], v[40:41]
	v_add_f64 v[40:41], v[58:59], v[182:183]
	;; [unrolled: 1-line block ×4, first 2 shown]
	v_mul_f64 v[196:197], v[234:235], s[22:23]
	v_add_f64 v[136:137], v[192:193], -v[136:137]
	v_add_f64 v[54:55], v[54:55], v[148:149]
	v_add_f64 v[38:39], v[58:59], v[38:39]
	v_mul_f64 v[194:195], v[236:237], s[16:17]
	v_mul_f64 v[26:27], v[242:243], s[16:17]
	v_add_f64 v[28:29], v[196:197], -v[162:163]
	v_add_f64 v[22:23], v[136:137], v[22:23]
	v_add_f64 v[38:39], v[54:55], v[38:39]
	v_add_f64 v[26:27], v[26:27], -v[204:205]
	v_mul_f64 v[204:205], v[244:245], s[20:21]
	v_add_f64 v[22:23], v[28:29], v[22:23]
	v_add_f64 v[28:29], v[62:63], v[194:195]
	;; [unrolled: 1-line block ×3, first 2 shown]
	v_mul_f64 v[196:197], v[242:243], s[20:21]
	v_add_f64 v[22:23], v[26:27], v[22:23]
	v_add_f64 v[26:27], v[64:65], v[204:205]
	;; [unrolled: 1-line block ×3, first 2 shown]
	v_accvgpr_read_b32 v58, a208
	v_mul_f64 v[36:37], v[246:247], s[18:19]
	v_add_f64 v[28:29], v[26:27], v[28:29]
	v_add_f64 v[26:27], v[196:197], -v[56:57]
	v_accvgpr_read_b32 v56, a210
	v_accvgpr_read_b32 v59, a209
	v_mul_f64 v[70:71], v[226:227], s[22:23]
	v_accvgpr_read_b32 v57, a211
	v_add_f64 v[36:37], v[36:37], -v[58:59]
	v_add_f64 v[56:57], v[70:71], -v[56:57]
	v_add_f64 v[36:37], v[140:141], v[36:37]
	v_add_f64 v[36:37], v[56:57], v[36:37]
	v_accvgpr_read_b32 v56, a176
	v_mul_f64 v[32:33], v[232:233], s[24:25]
	v_accvgpr_read_b32 v54, a212
	v_accvgpr_read_b32 v57, a177
	v_mul_f64 v[178:179], v[220:221], s[24:25]
	v_accvgpr_read_b32 v55, a213
	v_add_f64 v[32:33], v[56:57], v[32:33]
	v_accvgpr_read_b32 v56, a164
	v_mul_f64 v[16:17], v[248:249], s[16:17]
	v_add_f64 v[54:55], v[178:179], -v[54:55]
	v_accvgpr_read_b32 v57, a165
	v_add_f64 v[36:37], v[54:55], v[36:37]
	v_accvgpr_read_b32 v54, a194
	v_add_f64 v[16:17], v[56:57], v[16:17]
	v_mul_f64 v[176:177], v[222:223], s[22:23]
	v_accvgpr_read_b32 v55, a195
	v_add_f64 v[16:17], v[142:143], v[16:17]
	v_mul_f64 v[180:181], v[224:225], s[6:7]
	v_add_f64 v[54:55], v[54:55], v[176:177]
	v_add_f64 v[16:17], v[32:33], v[16:17]
	v_add_f64 v[40:41], v[180:181], -v[250:251]
	v_add_f64 v[16:17], v[54:55], v[16:17]
	v_accvgpr_read_b32 v54, a172
	v_mul_f64 v[30:31], v[226:227], s[24:25]
	v_add_f64 v[36:37], v[40:41], v[36:37]
	v_accvgpr_read_b32 v40, a202
	v_accvgpr_read_b32 v55, a173
	v_mul_f64 v[190:191], v[230:231], s[20:21]
	v_accvgpr_read_b32 v41, a203
	v_add_f64 v[30:31], v[30:31], -v[54:55]
	v_accvgpr_read_b32 v54, a160
	v_mul_f64 v[12:13], v[246:247], s[16:17]
	v_mul_f64 v[174:175], v[234:235], s[16:17]
	v_add_f64 v[40:41], v[40:41], v[190:191]
	v_accvgpr_read_b32 v55, a161
	v_add_f64 v[38:39], v[174:175], -v[170:171]
	v_add_f64 v[16:17], v[40:41], v[16:17]
	v_accvgpr_read_b32 v40, a180
	v_add_f64 v[12:13], v[12:13], -v[54:55]
	v_mul_f64 v[164:165], v[220:221], s[22:23]
	v_add_f64 v[36:37], v[38:39], v[36:37]
	v_accvgpr_read_b32 v38, a204
	v_accvgpr_read_b32 v41, a181
	v_add_f64 v[12:13], v[140:141], v[12:13]
	v_mul_f64 v[76:77], v[236:237], s[18:19]
	v_accvgpr_read_b32 v39, a205
	v_add_f64 v[40:41], v[164:165], -v[40:41]
	v_add_f64 v[12:13], v[30:31], v[12:13]
	v_add_f64 v[38:39], v[38:39], v[76:77]
	;; [unrolled: 1-line block ×3, first 2 shown]
	v_accvgpr_read_b32 v40, a170
	v_mul_f64 v[42:43], v[232:233], s[16:17]
	v_add_f64 v[16:17], v[38:39], v[16:17]
	v_accvgpr_read_b32 v38, a196
	v_accvgpr_read_b32 v41, a171
	v_mul_f64 v[188:189], v[224:225], s[20:21]
	v_accvgpr_read_b32 v39, a197
	v_add_f64 v[40:41], v[40:41], v[42:43]
	v_accvgpr_read_b32 v42, a158
	v_mul_f64 v[10:11], v[248:249], s[6:7]
	v_add_f64 v[38:39], v[188:189], -v[38:39]
	v_accvgpr_read_b32 v43, a159
	v_add_f64 v[12:13], v[38:39], v[12:13]
	v_accvgpr_read_b32 v38, a178
	v_add_f64 v[10:11], v[42:43], v[10:11]
	v_mul_f64 v[150:151], v[222:223], s[18:19]
	v_add_f64 v[26:27], v[26:27], v[36:37]
	v_accvgpr_read_b32 v36, a206
	v_accvgpr_read_b32 v39, a179
	v_add_f64 v[10:11], v[142:143], v[10:11]
	v_mul_f64 v[192:193], v[244:245], s[6:7]
	v_accvgpr_read_b32 v37, a207
	v_add_f64 v[38:39], v[38:39], v[150:151]
	v_add_f64 v[10:11], v[40:41], v[10:11]
	;; [unrolled: 1-line block ×4, first 2 shown]
	v_accvgpr_read_b32 v38, a174
	v_mul_f64 v[34:35], v[220:221], s[18:19]
	v_add_f64 v[32:33], v[36:37], v[16:17]
	v_accvgpr_read_b32 v36, a198
	v_accvgpr_read_b32 v39, a175
	v_mul_f64 v[166:167], v[234:235], s[18:19]
	v_accvgpr_read_b32 v16, a200
	v_accvgpr_read_b32 v37, a199
	v_add_f64 v[34:35], v[34:35], -v[38:39]
	v_accvgpr_read_b32 v38, a162
	v_mul_f64 v[14:15], v[226:227], s[16:17]
	v_mul_f64 v[162:163], v[242:243], s[6:7]
	v_accvgpr_read_b32 v17, a201
	v_add_f64 v[36:37], v[166:167], -v[36:37]
	v_accvgpr_read_b32 v39, a163
	v_add_f64 v[16:17], v[162:163], -v[16:17]
	v_add_f64 v[12:13], v[36:37], v[12:13]
	v_accvgpr_read_b32 v36, a184
	v_add_f64 v[14:15], v[14:15], -v[38:39]
	v_accvgpr_read_b32 v38, a156
	v_add_f64 v[0:1], v[0:1], v[8:9]
	v_mul_f64 v[8:9], v[246:247], s[6:7]
	v_mul_f64 v[152:153], v[230:231], s[24:25]
	v_add_f64 v[30:31], v[16:17], v[12:13]
	v_accvgpr_read_b32 v16, a188
	v_accvgpr_read_b32 v37, a185
	;; [unrolled: 1-line block ×3, first 2 shown]
	v_mul_f64 v[172:173], v[236:237], s[20:21]
	v_accvgpr_read_b32 v12, a192
	v_accvgpr_read_b32 v17, a189
	v_add_f64 v[36:37], v[36:37], v[152:153]
	v_add_f64 v[8:9], v[8:9], -v[38:39]
	v_mul_f64 v[202:203], v[244:245], s[22:23]
	v_accvgpr_read_b32 v13, a193
	v_add_f64 v[16:17], v[16:17], v[172:173]
	v_add_f64 v[10:11], v[36:37], v[10:11]
	v_accvgpr_read_b32 v36, a182
	v_add_f64 v[8:9], v[140:141], v[8:9]
	v_mul_f64 v[154:155], v[224:225], s[24:25]
	v_add_f64 v[12:13], v[12:13], v[202:203]
	v_add_f64 v[10:11], v[16:17], v[10:11]
	v_accvgpr_read_b32 v16, a186
	v_accvgpr_read_b32 v37, a183
	v_add_f64 v[8:9], v[14:15], v[8:9]
	v_mul_f64 v[186:187], v[234:235], s[20:21]
	v_add_f64 v[10:11], v[12:13], v[10:11]
	v_accvgpr_read_b32 v12, a190
	v_accvgpr_read_b32 v17, a187
	v_add_f64 v[36:37], v[154:155], -v[36:37]
	v_add_f64 v[8:9], v[34:35], v[8:9]
	v_mul_f64 v[198:199], v[242:243], s[22:23]
	v_accvgpr_read_b32 v13, a191
	v_add_f64 v[16:17], v[186:187], -v[16:17]
	v_add_f64 v[8:9], v[36:37], v[8:9]
	v_add_f64 v[12:13], v[198:199], -v[12:13]
	v_add_f64 v[8:9], v[16:17], v[8:9]
	v_add_f64 v[8:9], v[12:13], v[8:9]
	v_add_f64 v[12:13], v[142:143], v[44:45]
	v_add_f64 v[12:13], v[12:13], v[46:47]
	v_add_f64 v[12:13], v[12:13], v[48:49]
	v_add_f64 v[12:13], v[12:13], v[50:51]
	v_add_f64 v[12:13], v[12:13], v[52:53]
	v_add_f64 v[12:13], v[12:13], v[74:75]
	v_add_f64 v[12:13], v[12:13], v[78:79]
	v_add_f64 v[12:13], v[12:13], v[134:135]
	v_add_f64 v[12:13], v[12:13], v[138:139]
	v_add_f64 v[12:13], v[12:13], v[156:157]
	v_add_f64 v[12:13], v[12:13], v[158:159]
	v_add_f64 v[14:15], v[12:13], v[160:161]
	v_accvgpr_read_b32 v12, a128
	v_accvgpr_read_b32 v13, a129
	;; [unrolled: 1-line block ×3, first 2 shown]
	v_add_f64 v[12:13], v[140:141], v[12:13]
	v_accvgpr_read_b32 v17, a131
	v_add_f64 v[12:13], v[12:13], v[16:17]
	v_accvgpr_read_b32 v16, a132
	v_accvgpr_read_b32 v17, a133
	v_add_f64 v[12:13], v[12:13], v[16:17]
	v_accvgpr_read_b32 v16, a134
	;; [unrolled: 3-line block ×11, first 2 shown]
	v_mul_u32_u24_e32 v16, 52, v16
	v_accvgpr_read_b32 v17, a3
	v_or_b32_e32 v16, v16, v17
	v_lshlrev_b32_e32 v16, 4, v16
	ds_write_b128 v16, v[12:15]
	ds_write_b128 v16, v[8:11] offset:64
	ds_write_b128 v16, v[30:33] offset:128
	ds_write_b128 v16, v[26:29] offset:192
	ds_write_b128 v16, v[22:25] offset:256
	ds_write_b128 v16, v[18:21] offset:320
	ds_write_b128 v16, v[4:7] offset:384
	ds_write_b128 v16, v[0:3] offset:448
	ds_write_b128 v16, a[166:169] offset:512
	ds_write_b128 v16, a[122:125] offset:576
	ds_write_b128 v16, a[118:121] offset:640
	ds_write_b128 v16, a[114:117] offset:704
	ds_write_b128 v16, a[110:113] offset:768
.LBB0_15:
	s_or_b64 exec, exec, s[52:53]
	s_movk_i32 s16, 0x60
	v_mov_b64_e32 v[0:1], s[0:1]
	v_mad_u64_u32 v[2:3], s[6:7], v228, s16, v[0:1]
	s_movk_i32 s6, 0x4f
	v_accvgpr_read_b32 v4, a126
	s_waitcnt lgkmcnt(0)
	; wave barrier
	s_waitcnt lgkmcnt(0)
	global_load_dwordx4 v[160:163], v[2:3], off offset:800
	global_load_dwordx4 v[152:155], v[2:3], off offset:816
	;; [unrolled: 1-line block ×6, first 2 shown]
	v_mul_lo_u16_sdwa v2, v4, s6 dst_sel:DWORD dst_unused:UNUSED_PAD src0_sel:BYTE_0 src1_sel:DWORD
	v_lshrrev_b16_e32 v2, 12, v2
	v_mul_lo_u16_e32 v2, 52, v2
	v_sub_u16_e32 v2, v4, v2
	v_and_b32_e32 v64, 0xff, v2
	v_mad_u64_u32 v[0:1], s[6:7], v64, s16, v[0:1]
	global_load_dwordx4 v[192:195], v[0:1], off offset:800
	global_load_dwordx4 v[188:191], v[0:1], off offset:816
	;; [unrolled: 1-line block ×4, first 2 shown]
	ds_read_b128 v[4:7], v200
	ds_read_b128 v[8:11], v200 offset:832
	ds_read_b128 v[12:15], v200 offset:4992
	;; [unrolled: 1-line block ×5, first 2 shown]
	global_load_dwordx4 v[176:179], v[0:1], off offset:880
	global_load_dwordx4 v[184:187], v[0:1], off offset:864
	ds_read_b128 v[28:31], v200 offset:14976
	ds_read_b128 v[32:35], v200 offset:15808
	;; [unrolled: 1-line block ×15, first 2 shown]
	v_lshlrev_b32_e32 v36, 4, v228
	v_mov_b32_e32 v37, 0
	v_lshl_add_u64 v[56:57], s[14:15], 0, v[36:37]
	s_mov_b32 s14, 0x37e14327
	s_mov_b32 s6, 0x36b3c0b5
	;; [unrolled: 1-line block ×20, first 2 shown]
	s_waitcnt lgkmcnt(0)
	; wave barrier
	s_waitcnt vmcnt(11) lgkmcnt(0)
	v_mul_f64 v[54:55], v[40:41], v[162:163]
	s_waitcnt vmcnt(10)
	v_mul_f64 v[196:197], v[12:13], v[154:155]
	s_waitcnt vmcnt(9)
	v_mul_f64 v[198:199], v[52:53], v[150:151]
	v_mul_f64 v[220:221], v[18:19], v[154:155]
	s_waitcnt vmcnt(7)
	v_mul_f64 v[210:211], v[74:75], v[166:167]
	v_mul_f64 v[224:225], v[68:69], v[150:151]
	;; [unrolled: 1-line block ×5, first 2 shown]
	v_fmac_f64_e32 v[196:197], v[14:15], v[152:153]
	v_fma_f64 v[14:15], v[50:51], v[148:149], -v[198:199]
	v_fmac_f64_e32 v[210:211], v[76:77], v[164:165]
	v_fma_f64 v[76:77], v[16:17], v[152:153], -v[220:221]
	v_fma_f64 v[198:199], v[66:67], v[148:149], -v[224:225]
	v_mul_f64 v[66:67], v[66:67], v[150:151]
	v_mul_f64 v[16:17], v[26:27], v[142:143]
	;; [unrolled: 1-line block ×3, first 2 shown]
	v_fmac_f64_e32 v[66:67], v[68:69], v[148:149]
	v_fma_f64 v[68:69], v[24:25], v[140:141], -v[16:17]
	v_mul_f64 v[16:17], v[138:139], v[166:167]
	v_mul_f64 v[204:205], v[22:23], v[142:143]
	v_fmac_f64_e32 v[206:207], v[22:23], v[140:141]
	v_fma_f64 v[22:23], v[74:75], v[164:165], -v[208:209]
	v_fma_f64 v[208:209], v[136:137], v[164:165], -v[16:17]
	v_mul_f64 v[136:137], v[136:137], v[166:167]
	s_waitcnt vmcnt(6)
	v_mul_f64 v[16:17], v[34:35], v[158:159]
	v_fmac_f64_e32 v[136:137], v[138:139], v[164:165]
	v_fma_f64 v[138:139], v[32:33], v[156:157], -v[16:17]
	s_waitcnt vmcnt(5)
	v_mul_f64 v[16:17], v[48:49], v[194:195]
	v_mul_f64 v[78:79], v[38:39], v[162:163]
	;; [unrolled: 1-line block ×3, first 2 shown]
	v_fma_f64 v[226:227], v[38:39], v[160:161], -v[54:55]
	v_fma_f64 v[38:39], v[46:47], v[192:193], -v[16:17]
	s_waitcnt vmcnt(4)
	v_mul_f64 v[16:17], v[60:61], v[190:191]
	v_mul_f64 v[218:219], v[42:43], v[162:163]
	v_fma_f64 v[74:75], v[42:43], v[160:161], -v[216:217]
	v_fma_f64 v[42:43], v[58:59], v[188:189], -v[16:17]
	s_waitcnt vmcnt(2)
	v_mul_f64 v[16:17], v[72:73], v[182:183]
	v_fmac_f64_e32 v[78:79], v[40:41], v[160:161]
	v_mul_f64 v[40:41], v[46:47], v[194:195]
	v_fma_f64 v[46:47], v[70:71], v[180:181], -v[16:17]
	v_mul_f64 v[16:17], v[134:135], v[174:175]
	v_mul_f64 v[202:203], v[50:51], v[150:151]
	;; [unrolled: 1-line block ×3, first 2 shown]
	v_fma_f64 v[50:51], v[132:133], v[172:173], -v[16:17]
	s_waitcnt vmcnt(0)
	v_mul_f64 v[16:17], v[146:147], v[186:187]
	v_mul_f64 v[214:215], v[28:29], v[158:159]
	v_fma_f64 v[12:13], v[12:13], v[152:153], -v[62:63]
	v_fma_f64 v[28:29], v[28:29], v[156:157], -v[212:213]
	v_fmac_f64_e32 v[218:219], v[44:45], v[160:161]
	v_mul_f64 v[44:45], v[58:59], v[190:191]
	v_fma_f64 v[54:55], v[144:145], v[184:185], -v[16:17]
	v_mul_f64 v[16:17], v[170:171], v[178:179]
	v_fma_f64 v[20:21], v[20:21], v[140:141], -v[204:205]
	v_fmac_f64_e32 v[214:215], v[30:31], v[156:157]
	v_mul_f64 v[204:205], v[24:25], v[142:143]
	v_fmac_f64_e32 v[44:45], v[60:61], v[188:189]
	v_fma_f64 v[60:61], v[168:169], v[176:177], -v[16:17]
	v_add_f64 v[16:17], v[226:227], v[28:29]
	v_add_f64 v[24:25], v[226:227], -v[28:29]
	v_add_f64 v[28:29], v[12:13], v[22:23]
	v_fmac_f64_e32 v[202:203], v[52:53], v[148:149]
	v_fmac_f64_e32 v[222:223], v[18:19], v[152:153]
	v_mul_f64 v[212:213], v[32:33], v[158:159]
	v_fmac_f64_e32 v[40:41], v[48:49], v[192:193]
	v_mul_f64 v[48:49], v[70:71], v[182:183]
	v_add_f64 v[18:19], v[78:79], v[214:215]
	v_add_f64 v[30:31], v[196:197], v[210:211]
	;; [unrolled: 1-line block ×4, first 2 shown]
	v_fmac_f64_e32 v[204:205], v[26:27], v[140:141]
	v_fmac_f64_e32 v[212:213], v[34:35], v[156:157]
	;; [unrolled: 1-line block ×3, first 2 shown]
	v_add_f64 v[26:27], v[78:79], -v[214:215]
	v_add_f64 v[34:35], v[202:203], v[206:207]
	v_add_f64 v[72:73], v[30:31], v[18:19]
	v_add_f64 v[78:79], v[28:29], -v[16:17]
	v_add_f64 v[16:17], v[16:17], -v[32:33]
	;; [unrolled: 1-line block ×3, first 2 shown]
	v_add_f64 v[32:33], v[32:33], v[70:71]
	v_mul_f64 v[52:53], v[132:133], v[174:175]
	v_mul_f64 v[58:59], v[144:145], v[186:187]
	;; [unrolled: 1-line block ×3, first 2 shown]
	v_add_f64 v[12:13], v[12:13], -v[22:23]
	v_add_f64 v[14:15], v[20:21], -v[14:15]
	;; [unrolled: 1-line block ×5, first 2 shown]
	v_add_f64 v[34:35], v[34:35], v[72:73]
	v_add_f64 v[4:5], v[4:5], v[32:33]
	v_fmac_f64_e32 v[52:53], v[134:135], v[172:173]
	v_fmac_f64_e32 v[58:59], v[146:147], v[184:185]
	;; [unrolled: 1-line block ×3, first 2 shown]
	v_add_f64 v[22:23], v[196:197], -v[210:211]
	v_add_f64 v[20:21], v[206:207], -v[202:203]
	v_add_f64 v[134:135], v[14:15], v[12:13]
	v_add_f64 v[146:147], v[14:15], -v[12:13]
	v_add_f64 v[12:13], v[12:13], -v[24:25]
	v_add_f64 v[6:7], v[6:7], v[34:35]
	v_mov_b64_e32 v[170:171], v[4:5]
	v_add_f64 v[144:145], v[20:21], v[22:23]
	v_add_f64 v[168:169], v[20:21], -v[22:23]
	v_add_f64 v[14:15], v[24:25], -v[14:15]
	;; [unrolled: 1-line block ×3, first 2 shown]
	v_add_f64 v[24:25], v[134:135], v[24:25]
	v_mul_f64 v[16:17], v[16:17], s[14:15]
	v_mul_f64 v[18:19], v[18:19], s[14:15]
	;; [unrolled: 1-line block ×6, first 2 shown]
	v_fmac_f64_e32 v[170:171], s[20:21], v[32:33]
	v_mov_b64_e32 v[32:33], v[6:7]
	v_add_f64 v[20:21], v[26:27], -v[20:21]
	v_add_f64 v[26:27], v[144:145], v[26:27]
	v_mul_f64 v[144:145], v[168:169], s[18:19]
	v_mul_f64 v[168:169], v[22:23], s[16:17]
	v_fmac_f64_e32 v[32:33], s[20:21], v[34:35]
	v_fma_f64 v[34:35], v[78:79], s[22:23], -v[70:71]
	v_fma_f64 v[70:71], v[132:133], s[22:23], -v[72:73]
	;; [unrolled: 1-line block ×3, first 2 shown]
	v_fmac_f64_e32 v[16:17], s[6:7], v[28:29]
	v_fma_f64 v[28:29], v[132:133], s[24:25], -v[18:19]
	v_fmac_f64_e32 v[18:19], s[6:7], v[30:31]
	v_fma_f64 v[30:31], v[12:13], s[16:17], -v[134:135]
	v_fma_f64 v[132:133], v[14:15], s[30:31], -v[146:147]
	v_fmac_f64_e32 v[134:135], s[26:27], v[14:15]
	v_fma_f64 v[78:79], v[22:23], s[16:17], -v[144:145]
	v_fmac_f64_e32 v[144:145], s[26:27], v[20:21]
	v_fma_f64 v[146:147], v[20:21], s[30:31], -v[168:169]
	v_add_f64 v[196:197], v[18:19], v[32:33]
	v_add_f64 v[70:71], v[70:71], v[32:33]
	;; [unrolled: 1-line block ×3, first 2 shown]
	v_fmac_f64_e32 v[30:31], s[28:29], v[24:25]
	v_fmac_f64_e32 v[132:133], s[28:29], v[24:25]
	v_add_f64 v[34:35], v[34:35], v[170:171]
	v_add_f64 v[72:73], v[72:73], v[170:171]
	v_fmac_f64_e32 v[134:135], s[28:29], v[24:25]
	v_fmac_f64_e32 v[144:145], s[28:29], v[26:27]
	;; [unrolled: 1-line block ×4, first 2 shown]
	v_add_f64 v[18:19], v[32:33], -v[132:133]
	v_add_f64 v[22:23], v[30:31], v[70:71]
	v_add_f64 v[26:27], v[70:71], -v[30:31]
	v_add_f64 v[30:31], v[132:133], v[32:33]
	v_add_f64 v[70:71], v[74:75], v[138:139]
	;; [unrolled: 1-line block ×4, first 2 shown]
	v_add_f64 v[14:15], v[196:197], -v[134:135]
	v_add_f64 v[16:17], v[146:147], v[72:73]
	v_add_f64 v[20:21], v[34:35], -v[78:79]
	v_add_f64 v[24:25], v[78:79], v[34:35]
	v_add_f64 v[28:29], v[72:73], -v[146:147]
	v_add_f64 v[34:35], v[134:135], v[196:197]
	v_add_f64 v[72:73], v[218:219], v[212:213]
	v_add_f64 v[74:75], v[74:75], -v[138:139]
	v_add_f64 v[134:135], v[222:223], v[136:137]
	v_add_f64 v[138:139], v[198:199], v[68:69]
	;; [unrolled: 1-line block ×4, first 2 shown]
	v_add_f64 v[32:33], v[168:169], -v[144:145]
	v_add_f64 v[144:145], v[66:67], v[204:205]
	v_add_f64 v[168:169], v[134:135], v[72:73]
	v_add_f64 v[170:171], v[132:133], -v[70:71]
	v_add_f64 v[70:71], v[70:71], -v[138:139]
	;; [unrolled: 1-line block ×3, first 2 shown]
	v_add_f64 v[138:139], v[138:139], v[146:147]
	v_add_f64 v[78:79], v[218:219], -v[212:213]
	v_add_f64 v[136:137], v[222:223], -v[136:137]
	;; [unrolled: 1-line block ×6, first 2 shown]
	v_add_f64 v[144:145], v[144:145], v[168:169]
	v_add_f64 v[8:9], v[8:9], v[138:139]
	v_add_f64 v[76:77], v[76:77], -v[208:209]
	v_add_f64 v[68:69], v[68:69], -v[198:199]
	v_add_f64 v[202:203], v[66:67], v[136:137]
	v_add_f64 v[206:207], v[66:67], -v[136:137]
	v_add_f64 v[136:137], v[136:137], -v[78:79]
	v_add_f64 v[10:11], v[10:11], v[144:145]
	v_mov_b64_e32 v[208:209], v[8:9]
	v_add_f64 v[198:199], v[68:69], v[76:77]
	v_add_f64 v[204:205], v[68:69], -v[76:77]
	v_add_f64 v[66:67], v[78:79], -v[66:67]
	;; [unrolled: 1-line block ×3, first 2 shown]
	v_add_f64 v[78:79], v[202:203], v[78:79]
	v_mul_f64 v[70:71], v[70:71], s[14:15]
	v_mul_f64 v[72:73], v[72:73], s[14:15]
	;; [unrolled: 1-line block ×6, first 2 shown]
	v_fmac_f64_e32 v[208:209], s[20:21], v[138:139]
	v_mov_b64_e32 v[138:139], v[10:11]
	v_add_f64 v[68:69], v[74:75], -v[68:69]
	v_add_f64 v[74:75], v[198:199], v[74:75]
	v_mul_f64 v[198:199], v[204:205], s[18:19]
	v_mul_f64 v[204:205], v[76:77], s[16:17]
	v_fmac_f64_e32 v[138:139], s[20:21], v[144:145]
	v_fma_f64 v[144:145], v[170:171], s[22:23], -v[146:147]
	v_fma_f64 v[146:147], v[196:197], s[22:23], -v[168:169]
	;; [unrolled: 1-line block ×3, first 2 shown]
	v_fmac_f64_e32 v[70:71], s[6:7], v[132:133]
	v_fma_f64 v[132:133], v[196:197], s[24:25], -v[72:73]
	v_fma_f64 v[136:137], v[136:137], s[16:17], -v[202:203]
	v_fmac_f64_e32 v[202:203], s[26:27], v[66:67]
	v_fma_f64 v[196:197], v[66:67], s[30:31], -v[206:207]
	v_fmac_f64_e32 v[72:73], s[6:7], v[134:135]
	;; [unrolled: 2-line block ×3, first 2 shown]
	v_fma_f64 v[170:171], v[68:69], s[30:31], -v[204:205]
	v_add_f64 v[144:145], v[144:145], v[208:209]
	v_add_f64 v[168:169], v[168:169], v[208:209]
	v_fmac_f64_e32 v[202:203], s[28:29], v[78:79]
	v_fmac_f64_e32 v[136:137], s[28:29], v[78:79]
	;; [unrolled: 1-line block ×3, first 2 shown]
	v_add_f64 v[78:79], v[38:39], v[60:61]
	v_add_f64 v[38:39], v[38:39], -v[60:61]
	v_add_f64 v[60:61], v[42:43], v[54:55]
	v_add_f64 v[204:205], v[70:71], v[208:209]
	;; [unrolled: 1-line block ×5, first 2 shown]
	v_fmac_f64_e32 v[198:199], s[28:29], v[74:75]
	v_fmac_f64_e32 v[134:135], s[28:29], v[74:75]
	;; [unrolled: 1-line block ×3, first 2 shown]
	v_add_f64 v[70:71], v[196:197], v[168:169]
	v_add_f64 v[74:75], v[144:145], -v[136:137]
	v_add_f64 v[132:133], v[136:137], v[144:145]
	v_add_f64 v[136:137], v[168:169], -v[196:197]
	;; [unrolled: 2-line block ×7, first 2 shown]
	v_add_f64 v[52:53], v[62:63], v[168:169]
	v_add_f64 v[50:51], v[54:55], v[50:51]
	;; [unrolled: 1-line block ×5, first 2 shown]
	v_add_f64 v[68:69], v[206:207], -v[198:199]
	v_add_f64 v[72:73], v[138:139], -v[170:171]
	v_add_f64 v[76:77], v[134:135], v[146:147]
	v_add_f64 v[134:135], v[146:147], -v[134:135]
	v_add_f64 v[138:139], v[170:171], v[138:139]
	;; [unrolled: 2-line block ×3, first 2 shown]
	v_add_f64 v[170:171], v[60:61], -v[78:79]
	v_add_f64 v[196:197], v[62:63], -v[168:169]
	;; [unrolled: 1-line block ×6, first 2 shown]
	v_add_f64 v[198:199], v[46:47], v[42:43]
	v_add_f64 v[202:203], v[48:49], v[44:45]
	v_add_f64 v[204:205], v[46:47], -v[42:43]
	v_add_f64 v[206:207], v[48:49], -v[44:45]
	v_add_f64 v[2:3], v[2:3], v[52:53]
	v_mov_b64_e32 v[208:209], v[0:1]
	v_add_f64 v[46:47], v[38:39], -v[46:47]
	v_add_f64 v[48:49], v[40:41], -v[48:49]
	v_add_f64 v[42:43], v[42:43], -v[38:39]
	v_add_f64 v[44:45], v[44:45], -v[40:41]
	v_add_f64 v[38:39], v[198:199], v[38:39]
	v_add_f64 v[40:41], v[202:203], v[40:41]
	v_mul_f64 v[54:55], v[78:79], s[14:15]
	v_mul_f64 v[58:59], v[168:169], s[14:15]
	;; [unrolled: 1-line block ×6, first 2 shown]
	v_fmac_f64_e32 v[208:209], s[20:21], v[50:51]
	v_mov_b64_e32 v[50:51], v[2:3]
	v_mul_f64 v[204:205], v[42:43], s[16:17]
	v_mul_f64 v[206:207], v[44:45], s[16:17]
	v_fmac_f64_e32 v[50:51], s[20:21], v[52:53]
	v_fma_f64 v[52:53], s[6:7], v[60:61], v[54:55]
	v_fma_f64 v[60:61], v[170:171], s[22:23], -v[78:79]
	v_fma_f64 v[78:79], v[196:197], s[22:23], -v[168:169]
	;; [unrolled: 1-line block ×4, first 2 shown]
	v_fmac_f64_e32 v[58:59], s[6:7], v[62:63]
	v_fma_f64 v[62:63], s[26:27], v[46:47], v[198:199]
	v_fma_f64 v[170:171], v[42:43], s[16:17], -v[198:199]
	v_fma_f64 v[196:197], v[44:45], s[16:17], -v[202:203]
	v_fmac_f64_e32 v[202:203], s[26:27], v[48:49]
	v_fma_f64 v[198:199], v[46:47], s[30:31], -v[204:205]
	v_fma_f64 v[204:205], v[48:49], s[30:31], -v[206:207]
	v_add_f64 v[206:207], v[52:53], v[208:209]
	v_add_f64 v[210:211], v[58:59], v[50:51]
	;; [unrolled: 1-line block ×4, first 2 shown]
	v_fmac_f64_e32 v[62:63], s[28:29], v[38:39]
	v_fmac_f64_e32 v[170:171], s[28:29], v[38:39]
	;; [unrolled: 1-line block ×3, first 2 shown]
	v_add_f64 v[54:55], v[54:55], v[208:209]
	v_add_f64 v[60:61], v[168:169], v[50:51]
	v_fmac_f64_e32 v[202:203], s[28:29], v[40:41]
	v_fmac_f64_e32 v[198:199], s[28:29], v[38:39]
	;; [unrolled: 1-line block ×3, first 2 shown]
	v_add_f64 v[40:41], v[210:211], -v[62:63]
	v_add_f64 v[46:47], v[52:53], -v[196:197]
	v_add_f64 v[48:49], v[170:171], v[58:59]
	v_add_f64 v[50:51], v[196:197], v[52:53]
	v_add_f64 v[52:53], v[58:59], -v[170:171]
	v_add_f64 v[170:171], v[62:63], v[210:211]
	v_lshlrev_b32_e32 v211, 4, v64
	v_add_f64 v[38:39], v[202:203], v[206:207]
	v_add_f64 v[42:43], v[204:205], v[54:55]
	v_add_f64 v[44:45], v[60:61], -v[198:199]
	v_add_f64 v[58:59], v[54:55], -v[204:205]
	v_add_f64 v[60:61], v[198:199], v[60:61]
	v_add_f64 v[168:169], v[206:207], -v[202:203]
	ds_write_b128 v200, v[4:7]
	ds_write_b128 v200, v[12:15] offset:832
	ds_write_b128 v200, v[16:19] offset:1664
	;; [unrolled: 1-line block ×20, first 2 shown]
	v_accvgpr_read_b32 v0, a152
	v_mov_b32_e32 v1, v37
	v_lshl_add_u64 v[0:1], s[0:1], 0, v[0:1]
	s_mov_b64 s[6:7], 0x16a0
	s_movk_i32 s14, 0x1000
	v_lshl_add_u64 v[2:3], v[0:1], 0, s[6:7]
	v_add_co_u32_e32 v0, vcc, s14, v0
	v_accvgpr_write_b32 a126, v172
	s_nop 0
	v_addc_co_u32_e32 v1, vcc, 0, v1, vcc
	v_accvgpr_write_b32 a127, v173
	v_accvgpr_write_b32 a128, v174
	;; [unrolled: 1-line block ×3, first 2 shown]
	s_waitcnt lgkmcnt(0)
	; wave barrier
	s_waitcnt lgkmcnt(0)
	global_load_dwordx4 v[136:139], v[0:1], off offset:1696
	global_load_dwordx4 v[172:175], v[2:3], off offset:16
	v_accvgpr_read_b32 v0, a150
	v_lshlrev_b32_e32 v36, 4, v0
	v_lshl_add_u64 v[0:1], s[0:1], 0, v[36:37]
	v_lshl_add_u64 v[2:3], v[0:1], 0, s[6:7]
	v_add_co_u32_e32 v0, vcc, s14, v0
	v_accvgpr_write_b32 a134, v180
	v_accvgpr_write_b32 a130, v176
	v_addc_co_u32_e32 v1, vcc, 0, v1, vcc
	v_accvgpr_write_b32 a135, v181
	v_accvgpr_write_b32 a136, v182
	;; [unrolled: 1-line block ×6, first 2 shown]
	global_load_dwordx4 v[176:179], v[0:1], off offset:1696
	global_load_dwordx4 v[180:183], v[2:3], off offset:16
	v_accvgpr_read_b32 v0, a109
	v_lshlrev_b32_e32 v36, 4, v0
	v_lshl_add_u64 v[0:1], s[0:1], 0, v[36:37]
	v_lshl_add_u64 v[2:3], v[0:1], 0, s[6:7]
	v_add_co_u32_e32 v0, vcc, s14, v0
	v_accvgpr_read_b32 v36, a96
	s_nop 0
	v_addc_co_u32_e32 v1, vcc, 0, v1, vcc
	global_load_dwordx4 v[212:215], v[0:1], off offset:1696
	global_load_dwordx4 v[216:219], v[2:3], off offset:16
	v_accvgpr_read_b32 v0, a90
	v_mov_b32_e32 v1, v37
	v_lshl_add_u64 v[0:1], s[0:1], 0, v[0:1]
	v_lshl_add_u64 v[2:3], v[0:1], 0, s[6:7]
	v_add_co_u32_e32 v0, vcc, s14, v0
	v_accvgpr_write_b32 a138, v184
	s_nop 0
	v_addc_co_u32_e32 v1, vcc, 0, v1, vcc
	global_load_dwordx4 v[220:223], v[0:1], off offset:1696
	global_load_dwordx4 v[224:227], v[2:3], off offset:16
	v_accvgpr_read_b32 v0, a92
	v_mov_b32_e32 v1, v37
	v_lshl_add_u64 v[0:1], s[0:1], 0, v[0:1]
	v_lshl_add_u64 v[2:3], v[0:1], 0, s[6:7]
	v_add_co_u32_e32 v0, vcc, s14, v0
	v_accvgpr_write_b32 a142, v188
	;; [unrolled: 10-line block ×3, first 2 shown]
	s_nop 0
	v_addc_co_u32_e32 v1, vcc, 0, v1, vcc
	global_load_dwordx4 v[236:239], v[0:1], off offset:1696
	global_load_dwordx4 v[240:243], v[2:3], off offset:16
	v_lshl_add_u64 v[0:1], s[0:1], 0, v[36:37]
	v_add_co_u32_e32 v2, vcc, s14, v0
	v_accvgpr_write_b32 a140, v186
	s_nop 0
	v_addc_co_u32_e32 v3, vcc, 0, v1, vcc
	global_load_dwordx4 v[244:247], v[2:3], off offset:1696
	v_lshl_add_u64 v[0:1], v[0:1], 0, s[6:7]
	global_load_dwordx4 v[248:251], v[0:1], off offset:16
	ds_read_b128 v[24:27], v200
	ds_read_b128 v[20:23], v200 offset:832
	ds_read_b128 v[28:31], v200 offset:11648
	;; [unrolled: 1-line block ×20, first 2 shown]
	v_accvgpr_write_b32 a141, v187
	v_accvgpr_write_b32 a146, v192
	;; [unrolled: 1-line block ×8, first 2 shown]
	s_mov_b32 s0, 0xe8584caa
	s_mov_b32 s1, 0x3febb67a
	;; [unrolled: 1-line block ×3, first 2 shown]
	s_waitcnt vmcnt(13) lgkmcnt(4)
	v_mul_f64 v[78:79], v[72:73], v[138:139]
	v_fma_f64 v[78:79], v[70:71], v[136:137], -v[78:79]
	v_mul_f64 v[70:71], v[70:71], v[138:139]
	v_fmac_f64_e32 v[70:71], v[72:73], v[136:137]
	s_waitcnt vmcnt(12)
	v_mul_f64 v[72:73], v[30:31], v[174:175]
	v_fma_f64 v[72:73], v[28:29], v[172:173], -v[72:73]
	v_mul_f64 v[146:147], v[28:29], v[174:175]
	v_accvgpr_write_b32 a154, v172
	v_accvgpr_write_b32 a155, v173
	;; [unrolled: 1-line block ×4, first 2 shown]
	v_fmac_f64_e32 v[146:147], v[30:31], v[172:173]
	v_accvgpr_write_b32 a153, v139
	v_accvgpr_write_b32 a152, v138
	;; [unrolled: 1-line block ×4, first 2 shown]
	v_add_f64 v[30:31], v[78:79], v[72:73]
	s_waitcnt vmcnt(11)
	v_mul_f64 v[28:29], v[38:39], v[178:179]
	v_fma_f64 v[202:203], v[36:37], v[176:177], -v[28:29]
	s_waitcnt vmcnt(10)
	v_mul_f64 v[28:29], v[34:35], v[182:183]
	v_fma_f64 v[254:255], v[32:33], v[180:181], -v[28:29]
	v_mul_f64 v[252:253], v[36:37], v[178:179]
	v_accvgpr_write_b32 a158, v176
	v_accvgpr_write_b32 a159, v177
	;; [unrolled: 1-line block ×4, first 2 shown]
	v_fmac_f64_e32 v[252:253], v[38:39], v[176:177]
	s_waitcnt vmcnt(9)
	v_mul_f64 v[28:29], v[42:43], v[214:215]
	v_fma_f64 v[172:173], v[40:41], v[212:213], -v[28:29]
	s_waitcnt vmcnt(8)
	v_mul_f64 v[28:29], v[46:47], v[218:219]
	v_mul_f64 v[144:145], v[32:33], v[182:183]
	v_accvgpr_write_b32 a162, v180
	v_fma_f64 v[176:177], v[44:45], v[216:217], -v[28:29]
	v_accvgpr_write_b32 a163, v181
	v_accvgpr_write_b32 a164, v182
	;; [unrolled: 1-line block ×3, first 2 shown]
	v_fmac_f64_e32 v[144:145], v[34:35], v[180:181]
	s_waitcnt vmcnt(7)
	v_mul_f64 v[28:29], v[54:55], v[222:223]
	v_fma_f64 v[180:181], v[52:53], v[220:221], -v[28:29]
	s_waitcnt vmcnt(6)
	v_mul_f64 v[28:29], v[50:51], v[226:227]
	v_fma_f64 v[184:185], v[48:49], v[224:225], -v[28:29]
	s_mov_b32 s6, s0
	v_add_f64 v[34:35], v[70:71], v[146:147]
	v_mul_f64 v[174:175], v[40:41], v[214:215]
	v_add_f64 v[36:37], v[78:79], -v[72:73]
	v_add_f64 v[38:39], v[202:203], v[254:255]
	v_fmac_f64_e32 v[174:175], v[42:43], v[212:213]
	s_waitcnt vmcnt(5)
	v_mul_f64 v[28:29], v[60:61], v[230:231]
	v_fma_f64 v[188:189], v[58:59], v[228:229], -v[28:29]
	s_waitcnt vmcnt(4)
	v_mul_f64 v[28:29], v[64:65], v[234:235]
	v_fma_f64 v[192:193], v[62:63], v[232:233], -v[28:29]
	v_mul_f64 v[178:179], v[44:45], v[218:219]
	v_add_f64 v[42:43], v[252:253], v[144:145]
	v_fmac_f64_e32 v[178:179], v[46:47], v[216:217]
	v_mul_f64 v[186:187], v[48:49], v[226:227]
	v_add_f64 v[44:45], v[202:203], -v[254:255]
	v_add_f64 v[46:47], v[172:173], v[176:177]
	s_waitcnt vmcnt(3) lgkmcnt(2)
	v_mul_f64 v[28:29], v[76:77], v[238:239]
	v_fma_f64 v[136:137], v[74:75], v[236:237], -v[28:29]
	v_mul_f64 v[138:139], v[74:75], v[238:239]
	s_waitcnt vmcnt(2)
	v_mul_f64 v[28:29], v[68:69], v[242:243]
	v_fmac_f64_e32 v[138:139], v[76:77], v[236:237]
	v_fma_f64 v[76:77], v[66:67], v[240:241], -v[28:29]
	v_mul_f64 v[182:183], v[52:53], v[222:223]
	v_fmac_f64_e32 v[186:187], v[50:51], v[224:225]
	s_waitcnt vmcnt(1) lgkmcnt(1)
	v_mul_f64 v[28:29], v[134:135], v[246:247]
	v_fma_f64 v[198:199], v[132:133], v[244:245], -v[28:29]
	s_waitcnt vmcnt(0) lgkmcnt(0)
	v_mul_f64 v[28:29], v[170:171], v[250:251]
	v_fma_f64 v[206:207], v[168:169], v[248:249], -v[28:29]
	v_add_f64 v[28:29], v[24:25], v[78:79]
	v_fmac_f64_e32 v[24:25], -0.5, v[30:31]
	v_add_f64 v[30:31], v[70:71], -v[146:147]
	v_fma_f64 v[32:33], s[0:1], v[30:31], v[24:25]
	v_fmac_f64_e32 v[24:25], s[6:7], v[30:31]
	v_add_f64 v[30:31], v[26:27], v[70:71]
	v_fmac_f64_e32 v[26:27], -0.5, v[34:35]
	v_fma_f64 v[34:35], s[6:7], v[36:37], v[26:27]
	v_fmac_f64_e32 v[26:27], s[0:1], v[36:37]
	v_add_f64 v[36:37], v[20:21], v[202:203]
	v_fmac_f64_e32 v[20:21], -0.5, v[38:39]
	v_add_f64 v[38:39], v[252:253], -v[144:145]
	v_fma_f64 v[40:41], s[0:1], v[38:39], v[20:21]
	v_fmac_f64_e32 v[20:21], s[6:7], v[38:39]
	v_add_f64 v[38:39], v[22:23], v[252:253]
	v_fmac_f64_e32 v[22:23], -0.5, v[42:43]
	v_fma_f64 v[42:43], s[6:7], v[44:45], v[22:23]
	v_fmac_f64_e32 v[22:23], s[0:1], v[44:45]
	v_add_f64 v[44:45], v[16:17], v[172:173]
	v_fmac_f64_e32 v[16:17], -0.5, v[46:47]
	v_add_f64 v[46:47], v[174:175], -v[178:179]
	v_add_f64 v[50:51], v[174:175], v[178:179]
	v_fmac_f64_e32 v[182:183], v[54:55], v[220:221]
	v_mul_f64 v[190:191], v[58:59], v[230:231]
	v_fma_f64 v[48:49], s[0:1], v[46:47], v[16:17]
	v_fmac_f64_e32 v[16:17], s[6:7], v[46:47]
	v_add_f64 v[46:47], v[18:19], v[174:175]
	v_fmac_f64_e32 v[18:19], -0.5, v[50:51]
	v_add_f64 v[52:53], v[172:173], -v[176:177]
	v_add_f64 v[54:55], v[180:181], v[184:185]
	v_fmac_f64_e32 v[190:191], v[60:61], v[228:229]
	v_mul_f64 v[194:195], v[62:63], v[234:235]
	;; [unrolled: 8-line block ×3, first 2 shown]
	v_fma_f64 v[58:59], s[0:1], v[54:55], v[12:13]
	v_fmac_f64_e32 v[12:13], s[6:7], v[54:55]
	v_add_f64 v[54:55], v[14:15], v[182:183]
	v_fmac_f64_e32 v[14:15], -0.5, v[60:61]
	v_add_f64 v[62:63], v[180:181], -v[184:185]
	v_add_f64 v[64:65], v[188:189], v[192:193]
	v_fmac_f64_e32 v[196:197], v[68:69], v[240:241]
	v_fma_f64 v[60:61], s[6:7], v[62:63], v[14:15]
	v_fmac_f64_e32 v[14:15], s[0:1], v[62:63]
	v_add_f64 v[62:63], v[8:9], v[188:189]
	v_fmac_f64_e32 v[8:9], -0.5, v[64:65]
	v_add_f64 v[64:65], v[190:191], -v[194:195]
	v_add_f64 v[68:69], v[190:191], v[194:195]
	v_add_f64 v[28:29], v[28:29], v[72:73]
	v_fma_f64 v[66:67], s[0:1], v[64:65], v[8:9]
	v_fmac_f64_e32 v[8:9], s[6:7], v[64:65]
	v_add_f64 v[64:65], v[10:11], v[190:191]
	v_fmac_f64_e32 v[10:11], -0.5, v[68:69]
	v_add_f64 v[70:71], v[188:189], -v[192:193]
	v_add_f64 v[72:73], v[136:137], v[76:77]
	v_fma_f64 v[68:69], s[6:7], v[70:71], v[10:11]
	v_fmac_f64_e32 v[10:11], s[0:1], v[70:71]
	v_add_f64 v[70:71], v[4:5], v[136:137]
	v_fmac_f64_e32 v[4:5], -0.5, v[72:73]
	v_add_f64 v[72:73], v[138:139], -v[196:197]
	;; [unrolled: 6-line block ×3, first 2 shown]
	v_mul_f64 v[204:205], v[132:133], v[246:247]
	v_mul_f64 v[208:209], v[168:169], v[250:251]
	v_add_f64 v[70:71], v[70:71], v[76:77]
	v_fma_f64 v[76:77], s[6:7], v[78:79], v[6:7]
	v_fmac_f64_e32 v[6:7], s[0:1], v[78:79]
	v_add_f64 v[78:79], v[0:1], v[198:199]
	v_fmac_f64_e32 v[204:205], v[134:135], v[244:245]
	v_fmac_f64_e32 v[208:209], v[170:171], v[248:249]
	v_add_f64 v[132:133], v[78:79], v[206:207]
	v_add_f64 v[78:79], v[198:199], v[206:207]
	v_fmac_f64_e32 v[0:1], -0.5, v[78:79]
	v_add_f64 v[78:79], v[204:205], -v[208:209]
	v_fma_f64 v[168:169], s[0:1], v[78:79], v[0:1]
	v_fmac_f64_e32 v[0:1], s[6:7], v[78:79]
	v_add_f64 v[78:79], v[2:3], v[204:205]
	v_add_f64 v[134:135], v[78:79], v[208:209]
	;; [unrolled: 1-line block ×3, first 2 shown]
	v_fmac_f64_e32 v[2:3], -0.5, v[78:79]
	v_add_f64 v[78:79], v[198:199], -v[206:207]
	v_add_f64 v[30:31], v[30:31], v[146:147]
	v_fma_f64 v[170:171], s[6:7], v[78:79], v[2:3]
	s_movk_i32 s6, 0x4000
	v_add_f64 v[36:37], v[36:37], v[254:255]
	v_add_f64 v[38:39], v[38:39], v[144:145]
	;; [unrolled: 1-line block ×9, first 2 shown]
	v_fmac_f64_e32 v[2:3], s[0:1], v[78:79]
	ds_write_b128 v200, v[28:31]
	ds_write_b128 v200, v[32:35] offset:5824
	ds_write_b128 v200, v[24:27] offset:11648
	;; [unrolled: 1-line block ×20, first 2 shown]
	v_add_co_u32_e32 v4, vcc, s6, v56
	s_movk_i32 s0, 0x6000
	s_nop 0
	v_addc_co_u32_e32 v5, vcc, 0, v57, vcc
	s_waitcnt lgkmcnt(0)
	; wave barrier
	s_waitcnt lgkmcnt(0)
	global_load_dwordx4 v[4:7], v[4:5], off offset:1088
	v_add_co_u32_e32 v60, vcc, s0, v56
	s_mov_b64 s[0:1], 0x4440
	s_nop 0
	v_addc_co_u32_e32 v61, vcc, 0, v57, vcc
	global_load_dwordx4 v[8:11], v[60:61], off offset:1632
	v_lshl_add_u64 v[58:59], v[56:57], 0, s[0:1]
	global_load_dwordx4 v[12:15], v[58:59], off offset:832
	global_load_dwordx4 v[16:19], v[60:61], off offset:2464
	;; [unrolled: 1-line block ×5, first 2 shown]
	s_movk_i32 s0, 0x7000
	v_add_co_u32_e32 v62, vcc, s0, v56
	s_movk_i32 s0, 0x5000
	s_nop 0
	v_addc_co_u32_e32 v63, vcc, 0, v57, vcc
	global_load_dwordx4 v[32:35], v[62:63], off offset:32
	global_load_dwordx4 v[36:39], v[58:59], off offset:3328
	;; [unrolled: 1-line block ×3, first 2 shown]
	v_add_co_u32_e32 v64, vcc, s0, v56
	ds_read_b128 v[52:55], v200
	ds_read_b128 v[66:69], v200 offset:832
	v_addc_co_u32_e32 v65, vcc, 0, v57, vcc
	global_load_dwordx4 v[44:47], v[64:65], off offset:1152
	global_load_dwordx4 v[168:171], v[64:65], off offset:1984
	;; [unrolled: 1-line block ×4, first 2 shown]
	ds_read_b128 v[132:135], v200 offset:8736
	s_mov_b32 s0, 0x8000
	v_add_co_u32_e32 v56, vcc, s0, v56
	v_accvgpr_read_b32 v210, a90
	s_nop 0
	v_addc_co_u32_e32 v57, vcc, 0, v57, vcc
	v_accvgpr_mov_b32 a90, a92
	v_accvgpr_mov_b32 a92, a94
	;; [unrolled: 1-line block ×3, first 2 shown]
	s_waitcnt vmcnt(13) lgkmcnt(2)
	v_mul_f64 v[60:61], v[54:55], v[6:7]
	v_mul_f64 v[76:77], v[52:53], v[6:7]
	v_fma_f64 v[74:75], v[52:53], v[4:5], -v[60:61]
	v_fmac_f64_e32 v[76:77], v[54:55], v[4:5]
	ds_read_b128 v[4:7], v200 offset:9568
	ds_write_b128 v200, v[74:77]
	s_waitcnt vmcnt(12) lgkmcnt(2)
	v_mul_f64 v[52:53], v[134:135], v[10:11]
	v_mul_f64 v[54:55], v[132:133], v[10:11]
	global_load_dwordx4 v[74:77], v[62:63], off offset:2528
	v_fma_f64 v[52:53], v[132:133], v[8:9], -v[52:53]
	v_fmac_f64_e32 v[54:55], v[134:135], v[8:9]
	ds_write_b128 v200, v[52:55] offset:8736
	global_load_dwordx4 v[52:55], v[64:65], off offset:2816
	s_waitcnt vmcnt(13)
	v_mul_f64 v[8:9], v[68:69], v[14:15]
	v_mul_f64 v[10:11], v[66:67], v[14:15]
	v_fma_f64 v[8:9], v[66:67], v[12:13], -v[8:9]
	v_fmac_f64_e32 v[10:11], v[68:69], v[12:13]
	ds_write_b128 v200, v[8:11] offset:832
	s_waitcnt vmcnt(12) lgkmcnt(3)
	v_mul_f64 v[12:13], v[6:7], v[18:19]
	global_load_dwordx4 v[8:11], v[62:63], off offset:3360
	v_mul_f64 v[14:15], v[4:5], v[18:19]
	v_fma_f64 v[12:13], v[4:5], v[16:17], -v[12:13]
	v_fmac_f64_e32 v[14:15], v[6:7], v[16:17]
	ds_read_b128 v[60:63], v200 offset:1664
	ds_read_b128 v[4:7], v200 offset:2496
	ds_write_b128 v200, v[12:15] offset:9568
	global_load_dwordx4 v[12:15], v[64:65], off offset:3648
	global_load_dwordx4 v[16:19], v[56:57], off offset:96
	s_waitcnt vmcnt(14) lgkmcnt(2)
	v_mul_f64 v[64:65], v[62:63], v[26:27]
	v_mul_f64 v[66:67], v[60:61], v[26:27]
	v_fma_f64 v[64:65], v[60:61], v[24:25], -v[64:65]
	v_fmac_f64_e32 v[66:67], v[62:63], v[24:25]
	ds_write_b128 v200, v[64:67] offset:1664
	global_load_dwordx4 v[64:67], v[56:57], off offset:928
	ds_read_b128 v[132:135], v200 offset:10400
	ds_read_b128 v[24:27], v200 offset:11232
	s_waitcnt vmcnt(14) lgkmcnt(1)
	v_mul_f64 v[60:61], v[134:135], v[22:23]
	v_mul_f64 v[62:63], v[132:133], v[22:23]
	v_fma_f64 v[60:61], v[132:133], v[20:21], -v[60:61]
	v_fmac_f64_e32 v[62:63], v[134:135], v[20:21]
	s_waitcnt vmcnt(13)
	v_mul_f64 v[20:21], v[6:7], v[30:31]
	v_mul_f64 v[22:23], v[4:5], v[30:31]
	v_fma_f64 v[20:21], v[4:5], v[28:29], -v[20:21]
	v_fmac_f64_e32 v[22:23], v[6:7], v[28:29]
	ds_write_b128 v200, v[20:23] offset:2496
	ds_read_b128 v[20:23], v200 offset:3328
	s_waitcnt vmcnt(12) lgkmcnt(2)
	v_mul_f64 v[4:5], v[26:27], v[34:35]
	v_mul_f64 v[6:7], v[24:25], v[34:35]
	ds_read_b128 v[28:31], v200 offset:12064
	v_fma_f64 v[4:5], v[24:25], v[32:33], -v[4:5]
	v_fmac_f64_e32 v[6:7], v[26:27], v[32:33]
	ds_write_b128 v200, v[4:7] offset:11232
	ds_read_b128 v[4:7], v200 offset:4160
	s_waitcnt vmcnt(11) lgkmcnt(3)
	v_mul_f64 v[24:25], v[22:23], v[38:39]
	v_mul_f64 v[26:27], v[20:21], v[38:39]
	v_fma_f64 v[24:25], v[20:21], v[36:37], -v[24:25]
	v_fmac_f64_e32 v[26:27], v[22:23], v[36:37]
	ds_read_b128 v[20:23], v200 offset:12896
	ds_write_b128 v200, v[24:27] offset:3328
	s_waitcnt vmcnt(10) lgkmcnt(4)
	v_mul_f64 v[24:25], v[30:31], v[42:43]
	v_mul_f64 v[26:27], v[28:29], v[42:43]
	v_fma_f64 v[24:25], v[28:29], v[40:41], -v[24:25]
	v_fmac_f64_e32 v[26:27], v[30:31], v[40:41]
	ds_write_b128 v200, v[24:27] offset:12064
	s_waitcnt vmcnt(9) lgkmcnt(3)
	v_mul_f64 v[24:25], v[6:7], v[46:47]
	v_mul_f64 v[26:27], v[4:5], v[46:47]
	v_fma_f64 v[24:25], v[4:5], v[44:45], -v[24:25]
	v_fmac_f64_e32 v[26:27], v[6:7], v[44:45]
	ds_write_b128 v200, v[24:27] offset:4160
	ds_read_b128 v[24:27], v200 offset:4992
	s_waitcnt vmcnt(7) lgkmcnt(4)
	v_mul_f64 v[4:5], v[22:23], v[50:51]
	v_mul_f64 v[6:7], v[20:21], v[50:51]
	ds_read_b128 v[28:31], v200 offset:13728
	v_fma_f64 v[4:5], v[20:21], v[48:49], -v[4:5]
	v_fmac_f64_e32 v[6:7], v[22:23], v[48:49]
	ds_write_b128 v200, v[4:7] offset:12896
	ds_read_b128 v[4:7], v200 offset:5824
	s_waitcnt lgkmcnt(3)
	v_mul_f64 v[20:21], v[26:27], v[170:171]
	v_mul_f64 v[22:23], v[24:25], v[170:171]
	v_fma_f64 v[20:21], v[24:25], v[168:169], -v[20:21]
	v_fmac_f64_e32 v[22:23], v[26:27], v[168:169]
	ds_write_b128 v200, v[20:23] offset:4992
	ds_read_b128 v[20:23], v200 offset:14560
	ds_write_b128 v200, v[60:63] offset:10400
	s_waitcnt vmcnt(5) lgkmcnt(5)
	v_mul_f64 v[24:25], v[30:31], v[76:77]
	v_mul_f64 v[26:27], v[28:29], v[76:77]
	v_fma_f64 v[24:25], v[28:29], v[74:75], -v[24:25]
	v_fmac_f64_e32 v[26:27], v[30:31], v[74:75]
	ds_write_b128 v200, v[24:27] offset:13728
	s_waitcnt vmcnt(4) lgkmcnt(4)
	v_mul_f64 v[24:25], v[6:7], v[54:55]
	v_mul_f64 v[26:27], v[4:5], v[54:55]
	v_fma_f64 v[24:25], v[4:5], v[52:53], -v[24:25]
	v_fmac_f64_e32 v[26:27], v[6:7], v[52:53]
	ds_write_b128 v200, v[24:27] offset:5824
	ds_read_b128 v[24:27], v200 offset:6656
	s_waitcnt vmcnt(3) lgkmcnt(4)
	v_mul_f64 v[4:5], v[22:23], v[10:11]
	v_mul_f64 v[6:7], v[20:21], v[10:11]
	v_fma_f64 v[4:5], v[20:21], v[8:9], -v[4:5]
	v_fmac_f64_e32 v[6:7], v[22:23], v[8:9]
	ds_read_b128 v[20:23], v200 offset:15392
	ds_write_b128 v200, v[4:7] offset:14560
	ds_read_b128 v[4:7], v200 offset:7488
	s_waitcnt vmcnt(2) lgkmcnt(3)
	v_mul_f64 v[8:9], v[26:27], v[14:15]
	v_mul_f64 v[10:11], v[24:25], v[14:15]
	v_fma_f64 v[8:9], v[24:25], v[12:13], -v[8:9]
	v_fmac_f64_e32 v[10:11], v[26:27], v[12:13]
	ds_write_b128 v200, v[8:11] offset:6656
	ds_read_b128 v[8:11], v200 offset:16224
	s_waitcnt vmcnt(1) lgkmcnt(4)
	v_mul_f64 v[12:13], v[22:23], v[18:19]
	v_mul_f64 v[14:15], v[20:21], v[18:19]
	v_fma_f64 v[12:13], v[20:21], v[16:17], -v[12:13]
	v_fmac_f64_e32 v[14:15], v[22:23], v[16:17]
	ds_write_b128 v200, v[12:15] offset:15392
	s_waitcnt lgkmcnt(3)
	v_mul_f64 v[12:13], v[6:7], v[72:73]
	v_mul_f64 v[14:15], v[4:5], v[72:73]
	v_fma_f64 v[12:13], v[4:5], v[70:71], -v[12:13]
	v_fmac_f64_e32 v[14:15], v[6:7], v[70:71]
	s_waitcnt vmcnt(0) lgkmcnt(1)
	v_mul_f64 v[4:5], v[10:11], v[66:67]
	v_mul_f64 v[6:7], v[8:9], v[66:67]
	v_fma_f64 v[4:5], v[8:9], v[64:65], -v[4:5]
	v_fmac_f64_e32 v[6:7], v[10:11], v[64:65]
	ds_write_b128 v200, v[12:15] offset:7488
	ds_write_b128 v200, v[4:7] offset:16224
	s_and_saveexec_b64 s[0:1], s[4:5]
	s_cbranch_execz .LBB0_17
; %bb.16:
	v_add_co_u32_e32 v8, vcc, 0x2000, v58
	ds_read_b128 v[4:7], v200 offset:8320
	s_nop 0
	v_addc_co_u32_e32 v9, vcc, 0, v59, vcc
	global_load_dwordx4 v[8:11], v[8:9], off offset:128
	s_waitcnt vmcnt(0) lgkmcnt(0)
	v_mul_f64 v[12:13], v[6:7], v[10:11]
	v_mul_f64 v[14:15], v[4:5], v[10:11]
	v_fma_f64 v[12:13], v[4:5], v[8:9], -v[12:13]
	v_fmac_f64_e32 v[14:15], v[6:7], v[8:9]
	v_add_co_u32_e32 v8, vcc, s6, v58
	ds_read_b128 v[4:7], v200 offset:17056
	s_nop 0
	v_addc_co_u32_e32 v9, vcc, 0, v59, vcc
	global_load_dwordx4 v[8:11], v[8:9], off offset:672
	ds_write_b128 v200, v[12:15] offset:8320
	s_waitcnt vmcnt(0) lgkmcnt(1)
	v_mul_f64 v[12:13], v[6:7], v[10:11]
	v_mul_f64 v[14:15], v[4:5], v[10:11]
	v_fma_f64 v[12:13], v[4:5], v[8:9], -v[12:13]
	v_fmac_f64_e32 v[14:15], v[6:7], v[8:9]
	ds_write_b128 v200, v[12:15] offset:17056
.LBB0_17:
	s_or_b64 exec, exec, s[0:1]
	s_waitcnt lgkmcnt(0)
	; wave barrier
	s_waitcnt lgkmcnt(0)
	ds_read_b128 v[76:79], v200
	ds_read_b128 v[64:67], v200 offset:832
	ds_read_b128 v[132:135], v200 offset:8736
	;; [unrolled: 1-line block ×19, first 2 shown]
	s_and_saveexec_b64 s[0:1], s[4:5]
	s_cbranch_execz .LBB0_19
; %bb.18:
	ds_read_b128 v[0:3], v200 offset:8320
	ds_read_b128 a[166:169], v200 offset:17056
.LBB0_19:
	s_or_b64 exec, exec, s[0:1]
	s_waitcnt lgkmcnt(0)
	v_add_f64 v[8:9], v[4:5], -v[8:9]
	v_add_f64 v[10:11], v[6:7], -v[10:11]
	v_fma_f64 v[252:253], v[4:5], 2.0, -v[8:9]
	v_fma_f64 v[254:255], v[6:7], 2.0, -v[10:11]
	v_accvgpr_read_b32 v4, a166
	v_accvgpr_read_b32 v5, a167
	v_add_f64 v[132:133], v[76:77], -v[132:133]
	v_add_f64 v[134:135], v[78:79], -v[134:135]
	;; [unrolled: 1-line block ×3, first 2 shown]
	v_fma_f64 v[76:77], v[76:77], 2.0, -v[132:133]
	v_fma_f64 v[78:79], v[78:79], 2.0, -v[134:135]
	v_add_f64 v[72:73], v[64:65], -v[72:73]
	v_add_f64 v[74:75], v[66:67], -v[74:75]
	;; [unrolled: 1-line block ×3, first 2 shown]
	v_fma_f64 v[24:25], v[0:1], 2.0, -v[4:5]
	v_accvgpr_read_b32 v0, a86
	v_fma_f64 v[64:65], v[64:65], 2.0, -v[72:73]
	v_fma_f64 v[66:67], v[66:67], 2.0, -v[74:75]
	v_add_f64 v[68:69], v[60:61], -v[68:69]
	v_add_f64 v[70:71], v[62:63], -v[70:71]
	s_waitcnt lgkmcnt(0)
	; wave barrier
	ds_write_b128 v0, v[76:79]
	ds_write_b128 v0, v[132:135] offset:16
	v_accvgpr_read_b32 v0, a87
	v_fma_f64 v[60:61], v[60:61], 2.0, -v[68:69]
	v_fma_f64 v[62:63], v[62:63], 2.0, -v[70:71]
	v_add_f64 v[56:57], v[48:49], -v[56:57]
	v_add_f64 v[58:59], v[50:51], -v[58:59]
	;; [unrolled: 1-line block ×4, first 2 shown]
	ds_write_b128 v0, v[64:67]
	ds_write_b128 v0, v[72:75] offset:16
	v_accvgpr_read_b32 v0, a88
	v_fma_f64 v[48:49], v[48:49], 2.0, -v[56:57]
	v_fma_f64 v[50:51], v[50:51], 2.0, -v[58:59]
	;; [unrolled: 1-line block ×4, first 2 shown]
	v_add_f64 v[40:41], v[32:33], -v[40:41]
	v_add_f64 v[42:43], v[34:35], -v[42:43]
	ds_write_b128 v0, v[60:63]
	ds_write_b128 v0, v[68:71] offset:16
	ds_write_b128 v210, v[48:51]
	ds_write_b128 v210, v[56:59] offset:16
	v_accvgpr_read_b32 v0, a90
	v_fma_f64 v[32:33], v[32:33], 2.0, -v[40:41]
	v_fma_f64 v[34:35], v[34:35], 2.0, -v[42:43]
	v_add_f64 v[36:37], v[28:29], -v[36:37]
	v_add_f64 v[38:39], v[30:31], -v[38:39]
	ds_write_b128 v0, v[44:47]
	ds_write_b128 v0, v[52:55] offset:16
	v_accvgpr_read_b32 v0, a92
	v_fma_f64 v[28:29], v[28:29], 2.0, -v[36:37]
	v_fma_f64 v[30:31], v[30:31], 2.0, -v[38:39]
	v_add_f64 v[170:171], v[18:19], -v[26:27]
	ds_write_b128 v0, v[32:35]
	ds_write_b128 v0, v[40:43] offset:16
	v_accvgpr_read_b32 v0, a94
	v_fma_f64 v[16:17], v[16:17], 2.0, -v[168:169]
	v_fma_f64 v[18:19], v[18:19], 2.0, -v[170:171]
	v_add_f64 v[20:21], v[12:13], -v[20:21]
	v_add_f64 v[22:23], v[14:15], -v[22:23]
	v_accvgpr_read_b32 v6, a168
	v_accvgpr_read_b32 v7, a169
	ds_write_b128 v0, v[28:31]
	ds_write_b128 v0, v[36:39] offset:16
	v_accvgpr_read_b32 v0, a91
	v_fma_f64 v[12:13], v[12:13], 2.0, -v[20:21]
	v_fma_f64 v[14:15], v[14:15], 2.0, -v[22:23]
	v_add_f64 v[6:7], v[2:3], -v[6:7]
	ds_write_b128 v0, v[16:19]
	ds_write_b128 v0, v[168:171] offset:16
	v_accvgpr_read_b32 v0, a93
	v_fma_f64 v[26:27], v[2:3], 2.0, -v[6:7]
	ds_write_b128 v0, v[12:15]
	ds_write_b128 v0, v[20:23] offset:16
	v_accvgpr_read_b32 v0, a95
	ds_write_b128 v0, v[252:255]
	ds_write_b128 v0, v[8:11] offset:16
	s_and_saveexec_b64 s[0:1], s[4:5]
	s_cbranch_execz .LBB0_21
; %bb.20:
	v_accvgpr_read_b32 v0, a89
	ds_write_b128 v0, v[24:27]
	ds_write_b128 v0, v[4:7] offset:16
.LBB0_21:
	s_or_b64 exec, exec, s[0:1]
	s_waitcnt lgkmcnt(0)
	; wave barrier
	s_waitcnt lgkmcnt(0)
	ds_read_b128 v[44:47], v200
	ds_read_b128 v[40:43], v200 offset:832
	ds_read_b128 v[132:135], v200 offset:8736
	;; [unrolled: 1-line block ×19, first 2 shown]
	s_and_saveexec_b64 s[0:1], s[4:5]
	s_cbranch_execz .LBB0_23
; %bb.22:
	ds_read_b128 v[24:27], v200 offset:8320
	ds_read_b128 v[4:7], v200 offset:17056
.LBB0_23:
	s_or_b64 exec, exec, s[0:1]
	s_waitcnt lgkmcnt(13)
	v_mul_f64 v[144:145], v[130:131], v[78:79]
	v_mul_f64 v[136:137], v[130:131], v[134:135]
	v_fmac_f64_e32 v[144:145], v[128:129], v[76:77]
	v_mul_f64 v[76:77], v[130:131], v[76:77]
	v_fmac_f64_e32 v[136:137], v[128:129], v[132:133]
	v_mul_f64 v[132:133], v[130:131], v[132:133]
	v_fma_f64 v[76:77], v[128:129], v[78:79], -v[76:77]
	s_waitcnt lgkmcnt(12)
	v_mul_f64 v[78:79], v[130:131], v[74:75]
	s_waitcnt lgkmcnt(0)
	v_mul_f64 v[180:181], v[130:131], v[50:51]
	v_fma_f64 v[132:133], v[128:129], v[134:135], -v[132:133]
	v_mul_f64 v[134:135], v[130:131], v[254:255]
	v_mul_f64 v[138:139], v[130:131], v[252:253]
	v_fmac_f64_e32 v[78:79], v[128:129], v[72:73]
	v_mul_f64 v[72:73], v[130:131], v[72:73]
	v_mul_f64 v[176:177], v[130:131], v[54:55]
	v_fmac_f64_e32 v[180:181], v[128:129], v[48:49]
	v_mul_f64 v[48:49], v[130:131], v[48:49]
	v_fmac_f64_e32 v[134:135], v[128:129], v[252:253]
	v_fma_f64 v[138:139], v[128:129], v[254:255], -v[138:139]
	v_fma_f64 v[72:73], v[128:129], v[74:75], -v[72:73]
	v_mul_f64 v[74:75], v[130:131], v[70:71]
	v_mul_f64 v[172:173], v[130:131], v[58:59]
	v_fmac_f64_e32 v[176:177], v[128:129], v[52:53]
	v_mul_f64 v[52:53], v[130:131], v[52:53]
	v_fma_f64 v[182:183], v[128:129], v[50:51], -v[48:49]
	v_add_f64 v[48:49], v[44:45], -v[136:137]
	v_add_f64 v[50:51], v[46:47], -v[132:133]
	v_fmac_f64_e32 v[74:75], v[128:129], v[68:69]
	v_mul_f64 v[68:69], v[130:131], v[68:69]
	v_mul_f64 v[168:169], v[130:131], v[62:63]
	v_fmac_f64_e32 v[172:173], v[128:129], v[56:57]
	v_mul_f64 v[56:57], v[130:131], v[56:57]
	v_fma_f64 v[178:179], v[128:129], v[54:55], -v[52:53]
	v_fma_f64 v[44:45], v[44:45], 2.0, -v[48:49]
	v_fma_f64 v[46:47], v[46:47], 2.0, -v[50:51]
	v_add_f64 v[52:53], v[40:41], -v[134:135]
	v_add_f64 v[54:55], v[42:43], -v[138:139]
	v_accvgpr_read_b32 v132, a97
	v_fma_f64 v[68:69], v[128:129], v[70:71], -v[68:69]
	v_mul_f64 v[70:71], v[130:131], v[66:67]
	v_fmac_f64_e32 v[168:169], v[128:129], v[60:61]
	v_mul_f64 v[60:61], v[130:131], v[60:61]
	v_fma_f64 v[174:175], v[128:129], v[58:59], -v[56:57]
	v_fma_f64 v[40:41], v[40:41], 2.0, -v[52:53]
	v_fma_f64 v[42:43], v[42:43], 2.0, -v[54:55]
	v_add_f64 v[56:57], v[36:37], -v[144:145]
	v_add_f64 v[58:59], v[38:39], -v[76:77]
	s_waitcnt lgkmcnt(0)
	; wave barrier
	ds_write_b128 v132, v[44:47]
	ds_write_b128 v132, v[48:51] offset:32
	v_accvgpr_read_b32 v44, a98
	v_fmac_f64_e32 v[70:71], v[128:129], v[64:65]
	v_mul_f64 v[64:65], v[130:131], v[64:65]
	v_fma_f64 v[170:171], v[128:129], v[62:63], -v[60:61]
	v_fma_f64 v[36:37], v[36:37], 2.0, -v[56:57]
	v_fma_f64 v[38:39], v[38:39], 2.0, -v[58:59]
	v_add_f64 v[60:61], v[32:33], -v[78:79]
	v_add_f64 v[62:63], v[34:35], -v[72:73]
	ds_write_b128 v44, v[40:43]
	ds_write_b128 v44, v[52:55] offset:32
	v_accvgpr_read_b32 v40, a99
	v_fma_f64 v[146:147], v[128:129], v[66:67], -v[64:65]
	v_mul_f64 v[184:185], v[130:131], v[6:7]
	v_fma_f64 v[32:33], v[32:33], 2.0, -v[60:61]
	v_fma_f64 v[34:35], v[34:35], 2.0, -v[62:63]
	v_add_f64 v[64:65], v[28:29], -v[74:75]
	v_add_f64 v[66:67], v[30:31], -v[68:69]
	ds_write_b128 v40, v[36:39]
	ds_write_b128 v40, v[56:59] offset:32
	v_accvgpr_read_b32 v36, a100
	v_fmac_f64_e32 v[184:185], v[128:129], v[4:5]
	v_mul_f64 v[4:5], v[130:131], v[4:5]
	v_fma_f64 v[28:29], v[28:29], 2.0, -v[64:65]
	v_fma_f64 v[30:31], v[30:31], 2.0, -v[66:67]
	v_add_f64 v[68:69], v[20:21], -v[70:71]
	v_add_f64 v[70:71], v[22:23], -v[146:147]
	ds_write_b128 v36, v[32:35]
	ds_write_b128 v36, v[60:63] offset:32
	v_accvgpr_read_b32 v32, a101
	v_fma_f64 v[186:187], v[128:129], v[6:7], -v[4:5]
	v_fma_f64 v[72:73], v[20:21], 2.0, -v[68:69]
	v_fma_f64 v[74:75], v[22:23], 2.0, -v[70:71]
	v_add_f64 v[128:129], v[8:9], -v[168:169]
	v_add_f64 v[130:131], v[10:11], -v[170:171]
	ds_write_b128 v32, v[28:31]
	ds_write_b128 v32, v[64:67] offset:32
	v_accvgpr_read_b32 v28, a102
	v_fma_f64 v[76:77], v[8:9], 2.0, -v[128:129]
	v_fma_f64 v[78:79], v[10:11], 2.0, -v[130:131]
	v_add_f64 v[252:253], v[0:1], -v[172:173]
	v_add_f64 v[254:255], v[2:3], -v[174:175]
	ds_write_b128 v28, v[72:75]
	ds_write_b128 v28, v[68:71] offset:32
	v_accvgpr_read_b32 v28, a103
	;; [unrolled: 7-line block ×3, first 2 shown]
	v_fma_f64 v[4:5], v[16:17], 2.0, -v[8:9]
	v_fma_f64 v[6:7], v[18:19], 2.0, -v[10:11]
	v_add_f64 v[16:17], v[12:13], -v[180:181]
	v_add_f64 v[18:19], v[14:15], -v[182:183]
	;; [unrolled: 1-line block ×4, first 2 shown]
	ds_write_b128 v28, v[0:3]
	ds_write_b128 v28, v[252:255] offset:32
	v_accvgpr_read_b32 v28, a105
	v_fma_f64 v[12:13], v[12:13], 2.0, -v[16:17]
	v_fma_f64 v[14:15], v[14:15], 2.0, -v[18:19]
	;; [unrolled: 1-line block ×4, first 2 shown]
	ds_write_b128 v28, v[4:7]
	ds_write_b128 v28, v[8:11] offset:32
	v_accvgpr_read_b32 v28, a106
	ds_write_b128 v28, v[12:15]
	ds_write_b128 v28, v[16:19] offset:32
	s_and_saveexec_b64 s[0:1], s[4:5]
	s_cbranch_execz .LBB0_25
; %bb.24:
	s_movk_i32 s6, 0x47c
	v_accvgpr_read_b32 v28, a29
	v_accvgpr_read_b32 v29, a107
	v_and_or_b32 v28, v29, s6, v28
	v_lshlrev_b32_e32 v28, 4, v28
	ds_write_b128 v28, v[24:27]
	ds_write_b128 v28, v[20:23] offset:32
.LBB0_25:
	s_or_b64 exec, exec, s[0:1]
	s_waitcnt lgkmcnt(0)
	; wave barrier
	s_waitcnt lgkmcnt(0)
	ds_read_b128 v[28:31], v200
	ds_read_b128 v[76:79], v200 offset:1344
	ds_read_b128 v[72:75], v200 offset:2688
	;; [unrolled: 1-line block ×12, first 2 shown]
	s_and_saveexec_b64 s[0:1], s[2:3]
	s_cbranch_execz .LBB0_27
; %bb.26:
	ds_read_b128 v[128:131], v200 offset:832
	ds_read_b128 v[0:3], v200 offset:2176
	;; [unrolled: 1-line block ×13, first 2 shown]
.LBB0_27:
	s_or_b64 exec, exec, s[0:1]
	s_waitcnt lgkmcnt(11)
	v_mul_f64 v[132:133], v[82:83], v[78:79]
	v_fmac_f64_e32 v[132:133], v[80:81], v[76:77]
	v_mul_f64 v[76:77], v[82:83], v[76:77]
	v_fma_f64 v[76:77], v[80:81], v[78:79], -v[76:77]
	s_waitcnt lgkmcnt(10)
	v_mul_f64 v[78:79], v[86:87], v[74:75]
	v_fmac_f64_e32 v[78:79], v[84:85], v[72:73]
	v_mul_f64 v[72:73], v[86:87], v[72:73]
	v_fma_f64 v[74:75], v[84:85], v[74:75], -v[72:73]
	;; [unrolled: 5-line block ×12, first 2 shown]
	v_add_f64 v[32:33], v[28:29], v[132:133]
	v_add_f64 v[34:35], v[30:31], v[76:77]
	;; [unrolled: 1-line block ×19, first 2 shown]
	s_mov_b32 s14, 0x4267c47c
	s_mov_b32 s18, 0x42a4c3d2
	s_mov_b32 s22, 0x66966769
	s_mov_b32 s26, 0x2ef20147
	v_add_f64 v[34:35], v[34:35], v[40:41]
	v_add_f64 v[32:33], v[32:33], v[42:43]
	v_add_f64 v[138:139], v[76:77], v[134:135]
	v_add_f64 v[76:77], v[76:77], -v[134:135]
	s_mov_b32 s15, 0xbfddbe06
	s_mov_b32 s0, 0xe00740e9
	;; [unrolled: 1-line block ×10, first 2 shown]
	v_add_f64 v[34:35], v[34:35], v[36:37]
	v_add_f64 v[32:33], v[32:33], v[38:39]
	;; [unrolled: 1-line block ×3, first 2 shown]
	v_add_f64 v[38:39], v[132:133], -v[38:39]
	v_mul_f64 v[132:133], v[76:77], s[14:15]
	s_mov_b32 s1, 0x3fec55a7
	v_mul_f64 v[168:169], v[76:77], s[18:19]
	s_mov_b32 s7, 0x3fe22d96
	;; [unrolled: 2-line block ×6, first 2 shown]
	v_add_f64 v[34:35], v[34:35], v[134:135]
	v_fma_f64 v[134:135], s[0:1], v[136:137], v[132:133]
	v_fma_f64 v[132:133], v[136:137], s[0:1], -v[132:133]
	v_fma_f64 v[170:171], s[6:7], v[136:137], v[168:169]
	v_fma_f64 v[168:169], v[136:137], s[6:7], -v[168:169]
	;; [unrolled: 2-line block ×6, first 2 shown]
	v_add_f64 v[134:135], v[28:29], v[134:135]
	v_mul_f64 v[144:145], v[138:139], s[0:1]
	s_mov_b32 s29, 0x3fddbe06
	s_mov_b32 s28, s14
	v_add_f64 v[132:133], v[28:29], v[132:133]
	v_add_f64 v[170:171], v[28:29], v[170:171]
	v_mul_f64 v[172:173], v[138:139], s[6:7]
	s_mov_b32 s45, 0x3fea55e2
	s_mov_b32 s44, s18
	v_add_f64 v[168:169], v[28:29], v[168:169]
	;; [unrolled: 5-line block ×6, first 2 shown]
	v_add_f64 v[76:77], v[74:75], v[36:37]
	v_add_f64 v[36:37], v[74:75], -v[36:37]
	v_fma_f64 v[146:147], s[28:29], v[38:39], v[144:145]
	v_fmac_f64_e32 v[144:145], s[14:15], v[38:39]
	v_fma_f64 v[174:175], s[44:45], v[38:39], v[172:173]
	v_fmac_f64_e32 v[172:173], s[18:19], v[38:39]
	;; [unrolled: 2-line block ×6, first 2 shown]
	v_add_f64 v[38:39], v[78:79], v[42:43]
	v_mul_f64 v[74:75], v[36:37], s[18:19]
	v_add_f64 v[42:43], v[78:79], -v[42:43]
	v_fma_f64 v[78:79], s[6:7], v[38:39], v[74:75]
	v_add_f64 v[78:79], v[78:79], v[134:135]
	v_mul_f64 v[134:135], v[76:77], s[6:7]
	v_add_f64 v[144:145], v[30:31], v[144:145]
	v_fma_f64 v[136:137], s[44:45], v[42:43], v[134:135]
	v_fma_f64 v[74:75], v[38:39], s[6:7], -v[74:75]
	v_fmac_f64_e32 v[134:135], s[18:19], v[42:43]
	v_add_f64 v[74:75], v[74:75], v[132:133]
	v_add_f64 v[132:133], v[134:135], v[144:145]
	v_mul_f64 v[134:135], v[36:37], s[26:27]
	v_add_f64 v[146:147], v[30:31], v[146:147]
	v_add_f64 v[174:175], v[30:31], v[174:175]
	;; [unrolled: 1-line block ×11, first 2 shown]
	v_fma_f64 v[138:139], s[20:21], v[38:39], v[134:135]
	v_fma_f64 v[134:135], v[38:39], s[20:21], -v[134:135]
	v_mul_f64 v[144:145], v[76:77], s[20:21]
	v_add_f64 v[134:135], v[134:135], v[168:169]
	v_mul_f64 v[168:169], v[36:37], s[36:37]
	v_add_f64 v[136:137], v[136:137], v[146:147]
	v_add_f64 v[138:139], v[138:139], v[170:171]
	v_fma_f64 v[146:147], s[42:43], v[42:43], v[144:145]
	v_fmac_f64_e32 v[144:145], s[26:27], v[42:43]
	v_fma_f64 v[170:171], s[30:31], v[38:39], v[168:169]
	v_fma_f64 v[168:169], v[38:39], s[30:31], -v[168:169]
	v_add_f64 v[144:145], v[144:145], v[172:173]
	v_mul_f64 v[172:173], v[76:77], s[30:31]
	v_add_f64 v[168:169], v[168:169], v[176:177]
	v_mul_f64 v[176:177], v[36:37], s[40:41]
	v_add_f64 v[146:147], v[146:147], v[174:175]
	v_add_f64 v[170:171], v[170:171], v[178:179]
	v_fma_f64 v[174:175], s[46:47], v[42:43], v[172:173]
	v_fmac_f64_e32 v[172:173], s[36:37], v[42:43]
	v_fma_f64 v[178:179], s[24:25], v[38:39], v[176:177]
	v_fma_f64 v[176:177], v[38:39], s[24:25], -v[176:177]
	v_add_f64 v[172:173], v[172:173], v[180:181]
	v_mul_f64 v[180:181], v[76:77], s[24:25]
	v_add_f64 v[176:177], v[176:177], v[184:185]
	v_mul_f64 v[184:185], v[36:37], s[38:39]
	v_add_f64 v[174:175], v[174:175], v[182:183]
	v_add_f64 v[178:179], v[178:179], v[186:187]
	v_fma_f64 v[182:183], s[34:35], v[42:43], v[180:181]
	v_fmac_f64_e32 v[180:181], s[40:41], v[42:43]
	v_fma_f64 v[186:187], s[16:17], v[38:39], v[184:185]
	v_fma_f64 v[184:185], v[38:39], s[16:17], -v[184:185]
	v_mul_f64 v[36:37], v[36:37], s[28:29]
	v_add_f64 v[180:181], v[180:181], v[188:189]
	v_mul_f64 v[188:189], v[76:77], s[16:17]
	v_add_f64 v[184:185], v[184:185], v[192:193]
	v_fma_f64 v[192:193], s[0:1], v[38:39], v[36:37]
	v_mul_f64 v[76:77], v[76:77], s[0:1]
	v_fma_f64 v[36:37], v[38:39], s[0:1], -v[36:37]
	v_add_f64 v[38:39], v[70:71], v[40:41]
	v_add_f64 v[40:41], v[70:71], -v[40:41]
	v_add_f64 v[182:183], v[182:183], v[190:191]
	v_add_f64 v[186:187], v[186:187], v[194:195]
	v_fma_f64 v[190:191], s[22:23], v[42:43], v[188:189]
	v_fmac_f64_e32 v[188:189], s[38:39], v[42:43]
	v_fma_f64 v[194:195], s[14:15], v[42:43], v[76:77]
	v_add_f64 v[28:29], v[36:37], v[28:29]
	v_fmac_f64_e32 v[76:77], s[28:29], v[42:43]
	v_add_f64 v[36:37], v[72:73], v[46:47]
	v_add_f64 v[42:43], v[72:73], -v[46:47]
	v_mul_f64 v[46:47], v[40:41], s[22:23]
	v_fma_f64 v[70:71], s[16:17], v[36:37], v[46:47]
	v_mul_f64 v[72:73], v[38:39], s[16:17]
	v_fma_f64 v[46:47], v[36:37], s[16:17], -v[46:47]
	v_add_f64 v[30:31], v[76:77], v[30:31]
	v_fma_f64 v[76:77], s[38:39], v[42:43], v[72:73]
	v_add_f64 v[46:47], v[46:47], v[74:75]
	v_fmac_f64_e32 v[72:73], s[22:23], v[42:43]
	v_mul_f64 v[74:75], v[40:41], s[36:37]
	v_add_f64 v[70:71], v[70:71], v[78:79]
	v_add_f64 v[72:73], v[72:73], v[132:133]
	v_fma_f64 v[78:79], s[30:31], v[36:37], v[74:75]
	v_mul_f64 v[132:133], v[38:39], s[30:31]
	v_fma_f64 v[74:75], v[36:37], s[30:31], -v[74:75]
	v_add_f64 v[76:77], v[76:77], v[136:137]
	v_fma_f64 v[136:137], s[46:47], v[42:43], v[132:133]
	v_add_f64 v[74:75], v[74:75], v[134:135]
	v_fmac_f64_e32 v[132:133], s[36:37], v[42:43]
	v_mul_f64 v[134:135], v[40:41], s[42:43]
	v_add_f64 v[78:79], v[78:79], v[138:139]
	v_add_f64 v[132:133], v[132:133], v[144:145]
	v_fma_f64 v[138:139], s[20:21], v[36:37], v[134:135]
	v_mul_f64 v[144:145], v[38:39], s[20:21]
	v_fma_f64 v[134:135], v[36:37], s[20:21], -v[134:135]
	v_add_f64 v[136:137], v[136:137], v[146:147]
	v_fma_f64 v[146:147], s[26:27], v[42:43], v[144:145]
	v_add_f64 v[134:135], v[134:135], v[168:169]
	v_fmac_f64_e32 v[144:145], s[42:43], v[42:43]
	v_mul_f64 v[168:169], v[40:41], s[28:29]
	v_add_f64 v[138:139], v[138:139], v[170:171]
	v_add_f64 v[144:145], v[144:145], v[172:173]
	v_fma_f64 v[170:171], s[0:1], v[36:37], v[168:169]
	v_mul_f64 v[172:173], v[38:39], s[0:1]
	v_fma_f64 v[168:169], v[36:37], s[0:1], -v[168:169]
	v_add_f64 v[146:147], v[146:147], v[174:175]
	v_fma_f64 v[174:175], s[14:15], v[42:43], v[172:173]
	v_add_f64 v[168:169], v[168:169], v[176:177]
	v_fmac_f64_e32 v[172:173], s[28:29], v[42:43]
	v_mul_f64 v[176:177], v[40:41], s[18:19]
	v_add_f64 v[170:171], v[170:171], v[178:179]
	v_add_f64 v[172:173], v[172:173], v[180:181]
	v_fma_f64 v[178:179], s[6:7], v[36:37], v[176:177]
	v_mul_f64 v[180:181], v[38:39], s[6:7]
	v_mul_f64 v[38:39], v[38:39], s[24:25]
	v_add_f64 v[178:179], v[178:179], v[186:187]
	v_fma_f64 v[176:177], v[36:37], s[6:7], -v[176:177]
	v_mul_f64 v[40:41], v[40:41], s[34:35]
	v_fma_f64 v[186:187], s[40:41], v[42:43], v[38:39]
	v_fmac_f64_e32 v[38:39], s[34:35], v[42:43]
	v_add_f64 v[174:175], v[174:175], v[182:183]
	v_fma_f64 v[182:183], s[44:45], v[42:43], v[180:181]
	v_add_f64 v[176:177], v[176:177], v[184:185]
	v_fmac_f64_e32 v[180:181], s[18:19], v[42:43]
	v_fma_f64 v[184:185], s[24:25], v[36:37], v[40:41]
	v_fma_f64 v[36:37], v[36:37], s[24:25], -v[40:41]
	v_add_f64 v[30:31], v[38:39], v[30:31]
	v_add_f64 v[38:39], v[66:67], v[44:45]
	v_add_f64 v[42:43], v[66:67], -v[44:45]
	v_add_f64 v[28:29], v[36:37], v[28:29]
	v_add_f64 v[36:37], v[68:69], v[50:51]
	v_add_f64 v[40:41], v[68:69], -v[50:51]
	v_mul_f64 v[44:45], v[42:43], s[26:27]
	v_mul_f64 v[66:67], v[38:39], s[20:21]
	v_fma_f64 v[50:51], s[20:21], v[36:37], v[44:45]
	v_fma_f64 v[68:69], s[42:43], v[40:41], v[66:67]
	v_fma_f64 v[44:45], v[36:37], s[20:21], -v[44:45]
	v_fmac_f64_e32 v[66:67], s[26:27], v[40:41]
	v_add_f64 v[44:45], v[44:45], v[46:47]
	v_add_f64 v[46:47], v[66:67], v[72:73]
	v_mul_f64 v[66:67], v[42:43], s[40:41]
	v_add_f64 v[50:51], v[50:51], v[70:71]
	v_fma_f64 v[70:71], s[24:25], v[36:37], v[66:67]
	v_mul_f64 v[72:73], v[38:39], s[24:25]
	v_fma_f64 v[66:67], v[36:37], s[24:25], -v[66:67]
	v_add_f64 v[68:69], v[68:69], v[76:77]
	v_fma_f64 v[76:77], s[34:35], v[40:41], v[72:73]
	v_add_f64 v[66:67], v[66:67], v[74:75]
	v_fmac_f64_e32 v[72:73], s[40:41], v[40:41]
	v_mul_f64 v[74:75], v[42:43], s[28:29]
	v_add_f64 v[70:71], v[70:71], v[78:79]
	v_add_f64 v[72:73], v[72:73], v[132:133]
	v_fma_f64 v[78:79], s[0:1], v[36:37], v[74:75]
	v_mul_f64 v[132:133], v[38:39], s[0:1]
	v_fma_f64 v[74:75], v[36:37], s[0:1], -v[74:75]
	v_add_f64 v[76:77], v[76:77], v[136:137]
	v_fma_f64 v[136:137], s[14:15], v[40:41], v[132:133]
	v_add_f64 v[74:75], v[74:75], v[134:135]
	v_fmac_f64_e32 v[132:133], s[28:29], v[40:41]
	v_mul_f64 v[134:135], v[42:43], s[22:23]
	v_add_f64 v[78:79], v[78:79], v[138:139]
	;; [unrolled: 10-line block ×3, first 2 shown]
	v_add_f64 v[144:145], v[144:145], v[172:173]
	v_fma_f64 v[170:171], s[30:31], v[36:37], v[168:169]
	v_mul_f64 v[172:173], v[38:39], s[30:31]
	v_fma_f64 v[168:169], v[36:37], s[30:31], -v[168:169]
	v_mul_f64 v[42:43], v[42:43], s[44:45]
	v_mul_f64 v[38:39], v[38:39], s[6:7]
	v_add_f64 v[170:171], v[170:171], v[178:179]
	v_add_f64 v[168:169], v[168:169], v[176:177]
	v_fma_f64 v[176:177], s[6:7], v[36:37], v[42:43]
	v_fma_f64 v[178:179], s[18:19], v[40:41], v[38:39]
	v_fma_f64 v[36:37], v[36:37], s[6:7], -v[42:43]
	v_fmac_f64_e32 v[38:39], s[44:45], v[40:41]
	v_add_f64 v[42:43], v[62:63], -v[48:49]
	v_add_f64 v[28:29], v[36:37], v[28:29]
	v_add_f64 v[30:31], v[38:39], v[30:31]
	;; [unrolled: 1-line block ×4, first 2 shown]
	v_mul_f64 v[48:49], v[42:43], s[34:35]
	v_add_f64 v[146:147], v[146:147], v[174:175]
	v_fma_f64 v[174:175], s[36:37], v[40:41], v[172:173]
	v_fmac_f64_e32 v[172:173], s[46:47], v[40:41]
	v_add_f64 v[40:41], v[64:65], -v[54:55]
	v_fma_f64 v[54:55], s[24:25], v[36:37], v[48:49]
	v_add_f64 v[50:51], v[54:55], v[50:51]
	v_mul_f64 v[54:55], v[38:39], s[24:25]
	v_fma_f64 v[48:49], v[36:37], s[24:25], -v[48:49]
	v_fma_f64 v[62:63], s[40:41], v[40:41], v[54:55]
	v_add_f64 v[44:45], v[48:49], v[44:45]
	v_fmac_f64_e32 v[54:55], s[34:35], v[40:41]
	v_mul_f64 v[48:49], v[42:43], s[38:39]
	v_add_f64 v[46:47], v[54:55], v[46:47]
	v_fma_f64 v[54:55], s[16:17], v[36:37], v[48:49]
	v_mul_f64 v[64:65], v[38:39], s[16:17]
	v_fma_f64 v[48:49], v[36:37], s[16:17], -v[48:49]
	v_add_f64 v[62:63], v[62:63], v[68:69]
	v_fma_f64 v[68:69], s[22:23], v[40:41], v[64:65]
	v_add_f64 v[48:49], v[48:49], v[66:67]
	v_fmac_f64_e32 v[64:65], s[38:39], v[40:41]
	v_mul_f64 v[66:67], v[42:43], s[18:19]
	v_add_f64 v[54:55], v[54:55], v[70:71]
	v_add_f64 v[64:65], v[64:65], v[72:73]
	v_fma_f64 v[70:71], s[6:7], v[36:37], v[66:67]
	v_mul_f64 v[72:73], v[38:39], s[6:7]
	v_fma_f64 v[66:67], v[36:37], s[6:7], -v[66:67]
	v_add_f64 v[68:69], v[68:69], v[76:77]
	v_fma_f64 v[76:77], s[44:45], v[40:41], v[72:73]
	v_add_f64 v[66:67], v[66:67], v[74:75]
	v_fmac_f64_e32 v[72:73], s[18:19], v[40:41]
	v_mul_f64 v[74:75], v[42:43], s[46:47]
	v_add_f64 v[70:71], v[70:71], v[78:79]
	v_add_f64 v[72:73], v[72:73], v[132:133]
	v_fma_f64 v[78:79], s[30:31], v[36:37], v[74:75]
	v_mul_f64 v[132:133], v[38:39], s[30:31]
	v_fma_f64 v[74:75], v[36:37], s[30:31], -v[74:75]
	v_add_f64 v[190:191], v[190:191], v[198:199]
	v_add_f64 v[188:189], v[188:189], v[196:197]
	;; [unrolled: 1-line block ×4, first 2 shown]
	v_fma_f64 v[136:137], s[36:37], v[40:41], v[132:133]
	v_add_f64 v[74:75], v[74:75], v[134:135]
	v_fmac_f64_e32 v[132:133], s[46:47], v[40:41]
	v_mul_f64 v[134:135], v[42:43], s[28:29]
	v_add_f64 v[194:195], v[194:195], v[204:205]
	v_add_f64 v[182:183], v[182:183], v[190:191]
	;; [unrolled: 1-line block ×6, first 2 shown]
	v_fma_f64 v[138:139], s[0:1], v[36:37], v[134:135]
	v_mul_f64 v[144:145], v[38:39], s[0:1]
	v_fma_f64 v[134:135], v[36:37], s[0:1], -v[134:135]
	v_mul_f64 v[42:43], v[42:43], s[26:27]
	v_add_f64 v[186:187], v[186:187], v[194:195]
	v_add_f64 v[174:175], v[174:175], v[182:183]
	;; [unrolled: 1-line block ×5, first 2 shown]
	v_fma_f64 v[146:147], s[14:15], v[40:41], v[144:145]
	v_add_f64 v[134:135], v[134:135], v[168:169]
	v_fmac_f64_e32 v[144:145], s[28:29], v[40:41]
	v_fma_f64 v[168:169], s[20:21], v[36:37], v[42:43]
	v_mul_f64 v[38:39], v[38:39], s[20:21]
	v_fma_f64 v[36:37], v[36:37], s[20:21], -v[42:43]
	v_add_f64 v[182:183], v[56:57], -v[52:53]
	v_add_f64 v[178:179], v[178:179], v[186:187]
	v_add_f64 v[138:139], v[138:139], v[170:171]
	;; [unrolled: 1-line block ×4, first 2 shown]
	v_fma_f64 v[170:171], s[42:43], v[40:41], v[38:39]
	v_add_f64 v[172:173], v[36:37], v[28:29]
	v_add_f64 v[176:177], v[60:61], v[58:59]
	v_mul_f64 v[36:37], v[182:183], s[36:37]
	v_add_f64 v[170:171], v[170:171], v[178:179]
	v_fmac_f64_e32 v[38:39], s[26:27], v[40:41]
	v_add_f64 v[178:179], v[56:57], v[52:53]
	v_fma_f64 v[28:29], s[30:31], v[176:177], v[36:37]
	v_fma_f64 v[36:37], v[176:177], s[30:31], -v[36:37]
	v_add_f64 v[146:147], v[146:147], v[174:175]
	v_add_f64 v[174:175], v[38:39], v[30:31]
	v_add_f64 v[180:181], v[60:61], -v[58:59]
	v_mul_f64 v[38:39], v[178:179], s[30:31]
	v_add_f64 v[36:37], v[36:37], v[44:45]
	v_mul_f64 v[44:45], v[182:183], s[28:29]
	v_fma_f64 v[30:31], s[46:47], v[180:181], v[38:39]
	v_fmac_f64_e32 v[38:39], s[36:37], v[180:181]
	v_fma_f64 v[40:41], s[0:1], v[176:177], v[44:45]
	v_add_f64 v[38:39], v[38:39], v[46:47]
	v_add_f64 v[40:41], v[40:41], v[54:55]
	v_mul_f64 v[46:47], v[178:179], s[0:1]
	v_fma_f64 v[44:45], v[176:177], s[0:1], -v[44:45]
	v_mul_f64 v[52:53], v[182:183], s[34:35]
	v_mul_f64 v[54:55], v[178:179], s[24:25]
	;; [unrolled: 1-line block ×3, first 2 shown]
	v_add_f64 v[28:29], v[28:29], v[50:51]
	v_fma_f64 v[42:43], s[14:15], v[180:181], v[46:47]
	v_add_f64 v[44:45], v[44:45], v[48:49]
	v_fma_f64 v[48:49], s[24:25], v[176:177], v[52:53]
	v_fma_f64 v[50:51], s[40:41], v[180:181], v[54:55]
	;; [unrolled: 1-line block ×3, first 2 shown]
	v_add_f64 v[30:31], v[30:31], v[62:63]
	v_add_f64 v[42:43], v[42:43], v[68:69]
	v_fmac_f64_e32 v[46:47], s[28:29], v[180:181]
	v_add_f64 v[48:49], v[48:49], v[70:71]
	v_add_f64 v[50:51], v[50:51], v[76:77]
	v_fma_f64 v[52:53], v[176:177], s[24:25], -v[52:53]
	v_fmac_f64_e32 v[54:55], s[34:35], v[180:181]
	v_add_f64 v[56:57], v[56:57], v[78:79]
	v_mul_f64 v[62:63], v[178:179], s[6:7]
	v_fma_f64 v[60:61], v[176:177], s[6:7], -v[60:61]
	v_mul_f64 v[68:69], v[182:183], s[26:27]
	v_mul_f64 v[70:71], v[178:179], s[20:21]
	;; [unrolled: 1-line block ×4, first 2 shown]
	v_add_f64 v[46:47], v[46:47], v[64:65]
	v_add_f64 v[52:53], v[52:53], v[66:67]
	;; [unrolled: 1-line block ×3, first 2 shown]
	v_fma_f64 v[58:59], s[18:19], v[180:181], v[62:63]
	v_add_f64 v[60:61], v[60:61], v[74:75]
	v_fmac_f64_e32 v[62:63], s[44:45], v[180:181]
	v_fma_f64 v[64:65], s[20:21], v[176:177], v[68:69]
	v_fma_f64 v[66:67], s[42:43], v[180:181], v[70:71]
	v_fma_f64 v[68:69], v[176:177], s[20:21], -v[68:69]
	v_fmac_f64_e32 v[70:71], s[26:27], v[180:181]
	v_fma_f64 v[72:73], s[16:17], v[176:177], v[76:77]
	v_fma_f64 v[74:75], s[22:23], v[180:181], v[78:79]
	v_fma_f64 v[76:77], v[176:177], s[16:17], -v[76:77]
	v_fmac_f64_e32 v[78:79], s[38:39], v[180:181]
	v_add_f64 v[58:59], v[58:59], v[136:137]
	v_add_f64 v[62:63], v[62:63], v[132:133]
	;; [unrolled: 1-line block ×10, first 2 shown]
	s_waitcnt lgkmcnt(0)
	; wave barrier
	ds_write_b128 v201, v[32:35]
	ds_write_b128 v201, v[28:31] offset:64
	ds_write_b128 v201, v[40:43] offset:128
	;; [unrolled: 1-line block ×12, first 2 shown]
	s_and_saveexec_b64 s[48:49], s[2:3]
	s_cbranch_execz .LBB0_29
; %bb.28:
	v_mul_f64 v[32:33], v[98:99], v[14:15]
	v_fmac_f64_e32 v[32:33], v[96:97], v[12:13]
	v_mul_f64 v[12:13], v[98:99], v[12:13]
	v_mul_f64 v[34:35], v[102:103], v[22:23]
	v_fma_f64 v[46:47], v[96:97], v[14:15], -v[12:13]
	v_mul_f64 v[12:13], v[102:103], v[20:21]
	v_fmac_f64_e32 v[34:35], v[100:101], v[20:21]
	v_fma_f64 v[44:45], v[100:101], v[22:23], -v[12:13]
	v_mul_f64 v[42:43], v[94:95], v[10:11]
	v_accvgpr_read_b32 v20, a122
	v_fmac_f64_e32 v[42:43], v[92:93], v[8:9]
	v_accvgpr_read_b32 v21, a123
	v_accvgpr_read_b32 v22, a124
	;; [unrolled: 1-line block ×3, first 2 shown]
	v_mul_f64 v[8:9], v[94:95], v[8:9]
	v_mul_f64 v[40:41], v[126:127], v[22:23]
	v_fma_f64 v[54:55], v[92:93], v[10:11], -v[8:9]
	v_mul_f64 v[8:9], v[126:127], v[20:21]
	v_fmac_f64_e32 v[40:41], v[124:125], v[20:21]
	v_fma_f64 v[52:53], v[124:125], v[22:23], -v[8:9]
	v_mul_f64 v[50:51], v[90:91], v[6:7]
	v_accvgpr_read_b32 v20, a118
	v_mul_f64 v[28:29], v[114:115], v[18:19]
	v_fmac_f64_e32 v[50:51], v[88:89], v[4:5]
	v_accvgpr_read_b32 v21, a119
	v_mul_f64 v[4:5], v[90:91], v[4:5]
	v_fmac_f64_e32 v[28:29], v[112:113], v[16:17]
	v_mul_f64 v[30:31], v[110:111], v[26:27]
	v_mul_f64 v[16:17], v[114:115], v[16:17]
	v_accvgpr_read_b32 v22, a120
	v_accvgpr_read_b32 v23, a121
	v_fma_f64 v[66:67], v[88:89], v[6:7], -v[4:5]
	v_mul_f64 v[4:5], v[122:123], v[20:21]
	v_fmac_f64_e32 v[30:31], v[108:109], v[24:25]
	v_fma_f64 v[36:37], v[112:113], v[18:19], -v[16:17]
	v_mul_f64 v[16:17], v[110:111], v[24:25]
	v_mul_f64 v[48:49], v[122:123], v[22:23]
	v_fma_f64 v[60:61], v[120:121], v[22:23], -v[4:5]
	v_accvgpr_read_b32 v22, a114
	v_fmac_f64_e32 v[48:49], v[120:121], v[20:21]
	v_accvgpr_read_b32 v23, a115
	v_mul_f64 v[20:21], v[86:87], v[252:253]
	v_accvgpr_read_b32 v24, a116
	v_accvgpr_read_b32 v25, a117
	v_fma_f64 v[74:75], v[84:85], v[254:255], -v[20:21]
	v_mul_f64 v[20:21], v[118:119], v[22:23]
	v_fma_f64 v[38:39], v[108:109], v[26:27], -v[16:17]
	v_mul_f64 v[56:57], v[118:119], v[24:25]
	v_fma_f64 v[70:71], v[116:117], v[24:25], -v[20:21]
	v_accvgpr_read_b32 v24, a110
	v_mul_f64 v[68:69], v[82:83], v[2:3]
	v_accvgpr_read_b32 v26, a112
	v_accvgpr_read_b32 v27, a113
	v_fmac_f64_e32 v[68:69], v[80:81], v[0:1]
	v_accvgpr_read_b32 v25, a111
	v_mul_f64 v[64:65], v[106:107], v[26:27]
	v_mul_f64 v[0:1], v[82:83], v[0:1]
	;; [unrolled: 1-line block ×3, first 2 shown]
	v_fmac_f64_e32 v[64:65], v[104:105], v[24:25]
	v_fma_f64 v[80:81], v[80:81], v[2:3], -v[0:1]
	v_mul_f64 v[0:1], v[106:107], v[24:25]
	v_fmac_f64_e32 v[58:59], v[84:85], v[252:253]
	v_fmac_f64_e32 v[56:57], v[116:117], v[22:23]
	v_add_f64 v[112:113], v[68:69], -v[64:65]
	v_fma_f64 v[76:77], v[104:105], v[26:27], -v[0:1]
	v_add_f64 v[110:111], v[58:59], -v[56:57]
	v_mul_f64 v[22:23], v[112:113], s[36:37]
	v_add_f64 v[82:83], v[80:81], v[76:77]
	v_add_f64 v[94:95], v[50:51], -v[48:49]
	v_mul_f64 v[6:7], v[110:111], s[28:29]
	v_add_f64 v[84:85], v[74:75], v[70:71]
	v_fma_f64 v[0:1], s[30:31], v[82:83], v[22:23]
	v_add_f64 v[96:97], v[42:43], -v[40:41]
	v_mul_f64 v[10:11], v[94:95], s[34:35]
	v_add_f64 v[88:89], v[66:67], v[60:61]
	v_fma_f64 v[20:21], s[0:1], v[84:85], v[6:7]
	v_add_f64 v[0:1], v[130:131], v[0:1]
	v_add_f64 v[108:109], v[32:33], -v[34:35]
	v_mul_f64 v[14:15], v[96:97], s[44:45]
	v_add_f64 v[78:79], v[54:55], v[52:53]
	v_fma_f64 v[4:5], s[24:25], v[88:89], v[10:11]
	v_add_f64 v[0:1], v[20:21], v[0:1]
	v_add_f64 v[120:121], v[80:81], -v[76:77]
	v_add_f64 v[132:133], v[28:29], -v[30:31]
	v_mul_f64 v[18:19], v[108:109], s[26:27]
	v_add_f64 v[72:73], v[46:47], v[44:45]
	v_fma_f64 v[8:9], s[6:7], v[78:79], v[14:15]
	v_add_f64 v[0:1], v[4:5], v[0:1]
	v_add_f64 v[118:119], v[74:75], -v[70:71]
	v_add_f64 v[102:103], v[68:69], v[64:65]
	v_mul_f64 v[126:127], v[120:121], s[36:37]
	v_mul_f64 v[134:135], v[132:133], s[38:39]
	v_add_f64 v[62:63], v[36:37], v[38:39]
	v_fma_f64 v[12:13], s[20:21], v[72:73], v[18:19]
	v_add_f64 v[0:1], v[8:9], v[0:1]
	v_add_f64 v[116:117], v[66:67], -v[60:61]
	v_add_f64 v[100:101], v[58:59], v[56:57]
	v_mul_f64 v[122:123], v[118:119], s[28:29]
	v_fma_f64 v[136:137], v[102:103], s[30:31], -v[126:127]
	v_fma_f64 v[16:17], s[16:17], v[62:63], v[134:135]
	v_add_f64 v[0:1], v[12:13], v[0:1]
	v_add_f64 v[114:115], v[54:55], -v[52:53]
	v_add_f64 v[98:99], v[50:51], v[48:49]
	v_mul_f64 v[24:25], v[116:117], s[34:35]
	v_fma_f64 v[124:125], v[100:101], s[0:1], -v[122:123]
	v_add_f64 v[136:137], v[128:129], v[136:137]
	v_add_f64 v[2:3], v[16:17], v[0:1]
	v_add_f64 v[106:107], v[46:47], -v[44:45]
	v_add_f64 v[92:93], v[42:43], v[40:41]
	v_mul_f64 v[16:17], v[114:115], s[44:45]
	v_fma_f64 v[26:27], v[98:99], s[24:25], -v[24:25]
	v_add_f64 v[124:125], v[124:125], v[136:137]
	v_add_f64 v[90:91], v[32:33], v[34:35]
	v_mul_f64 v[8:9], v[106:107], s[26:27]
	v_fma_f64 v[20:21], v[92:93], s[6:7], -v[16:17]
	v_add_f64 v[26:27], v[26:27], v[124:125]
	v_fma_f64 v[12:13], v[90:91], s[20:21], -v[8:9]
	v_add_f64 v[20:21], v[20:21], v[26:27]
	v_add_f64 v[12:13], v[12:13], v[20:21]
	v_fma_f64 v[20:21], v[82:83], s[30:31], -v[22:23]
	v_fma_f64 v[6:7], v[84:85], s[0:1], -v[6:7]
	v_add_f64 v[20:21], v[130:131], v[20:21]
	v_fma_f64 v[10:11], v[88:89], s[24:25], -v[10:11]
	v_add_f64 v[6:7], v[6:7], v[20:21]
	v_fmac_f64_e32 v[126:127], s[30:31], v[102:103]
	v_add_f64 v[6:7], v[10:11], v[6:7]
	v_fmac_f64_e32 v[122:123], s[0:1], v[100:101]
	v_add_f64 v[10:11], v[128:129], v[126:127]
	v_add_f64 v[104:105], v[36:37], -v[38:39]
	v_fmac_f64_e32 v[24:25], s[24:25], v[98:99]
	v_add_f64 v[10:11], v[122:123], v[10:11]
	v_mul_f64 v[122:123], v[112:113], s[34:35]
	v_add_f64 v[86:87], v[28:29], v[30:31]
	v_mul_f64 v[4:5], v[104:105], s[38:39]
	;; [unrolled: 2-line block ×3, first 2 shown]
	v_fma_f64 v[124:125], s[24:25], v[82:83], v[122:123]
	v_mul_f64 v[146:147], v[120:121], s[34:35]
	v_fma_f64 v[0:1], v[86:87], s[16:17], -v[4:5]
	v_fma_f64 v[14:15], v[78:79], s[6:7], -v[14:15]
	v_fmac_f64_e32 v[16:17], s[6:7], v[92:93]
	v_mul_f64 v[20:21], v[94:95], s[18:19]
	v_fma_f64 v[26:27], s[16:17], v[84:85], v[24:25]
	v_add_f64 v[124:125], v[130:131], v[124:125]
	v_mul_f64 v[138:139], v[118:119], s[38:39]
	v_fma_f64 v[168:169], v[102:103], s[24:25], -v[146:147]
	v_add_f64 v[0:1], v[0:1], v[12:13]
	v_fma_f64 v[12:13], v[62:63], s[16:17], -v[134:135]
	v_fma_f64 v[18:19], v[72:73], s[20:21], -v[18:19]
	v_add_f64 v[6:7], v[14:15], v[6:7]
	v_add_f64 v[10:11], v[16:17], v[10:11]
	v_mul_f64 v[16:17], v[96:97], s[46:47]
	v_fma_f64 v[22:23], s[6:7], v[88:89], v[20:21]
	v_add_f64 v[26:27], v[26:27], v[124:125]
	v_mul_f64 v[134:135], v[116:117], s[18:19]
	v_fma_f64 v[144:145], v[100:101], s[16:17], -v[138:139]
	v_add_f64 v[168:169], v[128:129], v[168:169]
	v_add_f64 v[6:7], v[18:19], v[6:7]
	v_fmac_f64_e32 v[8:9], s[20:21], v[90:91]
	v_mul_f64 v[14:15], v[108:109], s[28:29]
	v_fma_f64 v[18:19], s[30:31], v[78:79], v[16:17]
	v_add_f64 v[22:23], v[22:23], v[26:27]
	v_mul_f64 v[124:125], v[114:115], s[46:47]
	v_fma_f64 v[136:137], v[98:99], s[6:7], -v[134:135]
	v_add_f64 v[144:145], v[144:145], v[168:169]
	v_add_f64 v[6:7], v[12:13], v[6:7]
	v_fmac_f64_e32 v[4:5], s[16:17], v[86:87]
	v_add_f64 v[8:9], v[8:9], v[10:11]
	v_mul_f64 v[12:13], v[132:133], s[26:27]
	v_fma_f64 v[10:11], s[0:1], v[72:73], v[14:15]
	v_add_f64 v[18:19], v[18:19], v[22:23]
	v_mul_f64 v[22:23], v[106:107], s[28:29]
	v_fma_f64 v[126:127], v[92:93], s[30:31], -v[124:125]
	v_add_f64 v[136:137], v[136:137], v[144:145]
	v_add_f64 v[4:5], v[4:5], v[8:9]
	v_fma_f64 v[8:9], s[20:21], v[62:63], v[12:13]
	v_add_f64 v[10:11], v[10:11], v[18:19]
	v_mul_f64 v[18:19], v[104:105], s[26:27]
	v_fma_f64 v[26:27], v[90:91], s[0:1], -v[22:23]
	v_add_f64 v[126:127], v[126:127], v[136:137]
	v_add_f64 v[10:11], v[8:9], v[10:11]
	v_fma_f64 v[8:9], v[86:87], s[20:21], -v[18:19]
	v_add_f64 v[26:27], v[26:27], v[126:127]
	v_add_f64 v[8:9], v[8:9], v[26:27]
	v_fma_f64 v[26:27], v[82:83], s[24:25], -v[122:123]
	v_fma_f64 v[24:25], v[84:85], s[16:17], -v[24:25]
	v_add_f64 v[26:27], v[130:131], v[26:27]
	v_fma_f64 v[20:21], v[88:89], s[6:7], -v[20:21]
	v_add_f64 v[24:25], v[24:25], v[26:27]
	;; [unrolled: 2-line block ×5, first 2 shown]
	v_fmac_f64_e32 v[146:147], s[24:25], v[102:103]
	v_add_f64 v[14:15], v[12:13], v[14:15]
	v_fmac_f64_e32 v[138:139], s[16:17], v[100:101]
	v_add_f64 v[12:13], v[128:129], v[146:147]
	v_mul_f64 v[136:137], v[112:113], s[26:27]
	v_fmac_f64_e32 v[134:135], s[6:7], v[98:99]
	v_add_f64 v[12:13], v[138:139], v[12:13]
	v_mul_f64 v[126:127], v[110:111], s[40:41]
	v_fma_f64 v[138:139], s[20:21], v[82:83], v[136:137]
	v_mul_f64 v[174:175], v[120:121], s[26:27]
	v_fmac_f64_e32 v[124:125], s[30:31], v[92:93]
	v_add_f64 v[12:13], v[134:135], v[12:13]
	v_mul_f64 v[122:123], v[94:95], s[28:29]
	v_fma_f64 v[134:135], s[24:25], v[84:85], v[126:127]
	v_add_f64 v[138:139], v[130:131], v[138:139]
	v_mul_f64 v[170:171], v[118:119], s[40:41]
	v_fma_f64 v[176:177], v[102:103], s[20:21], -v[174:175]
	v_fmac_f64_e32 v[22:23], s[0:1], v[90:91]
	v_add_f64 v[12:13], v[124:125], v[12:13]
	v_mul_f64 v[24:25], v[96:97], s[22:23]
	v_fma_f64 v[124:125], s[0:1], v[88:89], v[122:123]
	v_add_f64 v[134:135], v[134:135], v[138:139]
	v_mul_f64 v[146:147], v[116:117], s[28:29]
	v_fma_f64 v[172:173], v[100:101], s[24:25], -v[170:171]
	v_add_f64 v[176:177], v[128:129], v[176:177]
	v_fmac_f64_e32 v[18:19], s[20:21], v[86:87]
	v_add_f64 v[12:13], v[22:23], v[12:13]
	v_mul_f64 v[22:23], v[108:109], s[46:47]
	v_fma_f64 v[26:27], s[16:17], v[78:79], v[24:25]
	v_add_f64 v[124:125], v[124:125], v[134:135]
	v_mul_f64 v[138:139], v[114:115], s[22:23]
	v_fma_f64 v[168:169], v[98:99], s[0:1], -v[146:147]
	v_add_f64 v[172:173], v[172:173], v[176:177]
	v_add_f64 v[12:13], v[18:19], v[12:13]
	v_mul_f64 v[20:21], v[132:133], s[44:45]
	v_fma_f64 v[18:19], s[30:31], v[72:73], v[22:23]
	v_add_f64 v[26:27], v[26:27], v[124:125]
	v_mul_f64 v[124:125], v[106:107], s[46:47]
	v_fma_f64 v[144:145], v[92:93], s[16:17], -v[138:139]
	v_add_f64 v[168:169], v[168:169], v[172:173]
	v_fma_f64 v[16:17], s[6:7], v[62:63], v[20:21]
	v_add_f64 v[18:19], v[18:19], v[26:27]
	v_mul_f64 v[26:27], v[104:105], s[44:45]
	v_fma_f64 v[134:135], v[90:91], s[30:31], -v[124:125]
	v_add_f64 v[144:145], v[144:145], v[168:169]
	v_add_f64 v[18:19], v[16:17], v[18:19]
	v_fma_f64 v[16:17], v[86:87], s[6:7], -v[26:27]
	v_add_f64 v[134:135], v[134:135], v[144:145]
	v_add_f64 v[16:17], v[16:17], v[134:135]
	v_fma_f64 v[134:135], v[82:83], s[20:21], -v[136:137]
	v_fma_f64 v[126:127], v[84:85], s[24:25], -v[126:127]
	v_add_f64 v[134:135], v[130:131], v[134:135]
	v_fma_f64 v[122:123], v[88:89], s[0:1], -v[122:123]
	v_add_f64 v[126:127], v[126:127], v[134:135]
	;; [unrolled: 2-line block ×5, first 2 shown]
	v_fmac_f64_e32 v[174:175], s[20:21], v[102:103]
	v_add_f64 v[22:23], v[20:21], v[22:23]
	v_fmac_f64_e32 v[170:171], s[24:25], v[100:101]
	v_add_f64 v[20:21], v[128:129], v[174:175]
	v_mul_f64 v[168:169], v[112:113], s[22:23]
	v_fmac_f64_e32 v[146:147], s[0:1], v[98:99]
	v_add_f64 v[20:21], v[170:171], v[20:21]
	v_mul_f64 v[144:145], v[110:111], s[36:37]
	v_fma_f64 v[170:171], s[16:17], v[82:83], v[168:169]
	v_mul_f64 v[182:183], v[120:121], s[22:23]
	v_fmac_f64_e32 v[138:139], s[16:17], v[92:93]
	v_add_f64 v[20:21], v[146:147], v[20:21]
	v_mul_f64 v[136:137], v[94:95], s[42:43]
	v_fma_f64 v[146:147], s[30:31], v[84:85], v[144:145]
	v_add_f64 v[170:171], v[130:131], v[170:171]
	v_mul_f64 v[178:179], v[118:119], s[36:37]
	v_fma_f64 v[184:185], v[102:103], s[16:17], -v[182:183]
	v_fmac_f64_e32 v[124:125], s[30:31], v[90:91]
	v_add_f64 v[20:21], v[138:139], v[20:21]
	v_mul_f64 v[126:127], v[96:97], s[28:29]
	v_fma_f64 v[138:139], s[20:21], v[88:89], v[136:137]
	v_add_f64 v[146:147], v[146:147], v[170:171]
	v_mul_f64 v[174:175], v[116:117], s[42:43]
	v_fma_f64 v[180:181], v[100:101], s[30:31], -v[178:179]
	v_add_f64 v[184:185], v[128:129], v[184:185]
	v_fmac_f64_e32 v[26:27], s[6:7], v[86:87]
	v_add_f64 v[20:21], v[124:125], v[20:21]
	v_mul_f64 v[124:125], v[108:109], s[18:19]
	v_fma_f64 v[134:135], s[0:1], v[78:79], v[126:127]
	v_add_f64 v[138:139], v[138:139], v[146:147]
	v_mul_f64 v[170:171], v[114:115], s[28:29]
	v_fma_f64 v[176:177], v[98:99], s[20:21], -v[174:175]
	v_add_f64 v[180:181], v[180:181], v[184:185]
	v_add_f64 v[20:21], v[26:27], v[20:21]
	v_mul_f64 v[122:123], v[132:133], s[34:35]
	v_fma_f64 v[26:27], s[6:7], v[72:73], v[124:125]
	v_add_f64 v[134:135], v[134:135], v[138:139]
	v_mul_f64 v[138:139], v[106:107], s[18:19]
	v_fma_f64 v[172:173], v[92:93], s[0:1], -v[170:171]
	v_add_f64 v[176:177], v[176:177], v[180:181]
	v_fma_f64 v[24:25], s[24:25], v[62:63], v[122:123]
	v_add_f64 v[26:27], v[26:27], v[134:135]
	v_mul_f64 v[134:135], v[104:105], s[34:35]
	v_fma_f64 v[146:147], v[90:91], s[6:7], -v[138:139]
	v_add_f64 v[172:173], v[172:173], v[176:177]
	v_add_f64 v[26:27], v[24:25], v[26:27]
	v_fma_f64 v[24:25], v[86:87], s[24:25], -v[134:135]
	v_add_f64 v[146:147], v[146:147], v[172:173]
	v_add_f64 v[24:25], v[24:25], v[146:147]
	v_fma_f64 v[146:147], v[82:83], s[16:17], -v[168:169]
	v_fma_f64 v[144:145], v[84:85], s[30:31], -v[144:145]
	v_add_f64 v[146:147], v[130:131], v[146:147]
	v_fma_f64 v[136:137], v[88:89], s[20:21], -v[136:137]
	v_add_f64 v[144:145], v[144:145], v[146:147]
	;; [unrolled: 2-line block ×5, first 2 shown]
	v_fmac_f64_e32 v[182:183], s[16:17], v[102:103]
	v_add_f64 v[124:125], v[122:123], v[124:125]
	v_fmac_f64_e32 v[178:179], s[30:31], v[100:101]
	v_add_f64 v[122:123], v[128:129], v[182:183]
	;; [unrolled: 2-line block ×3, first 2 shown]
	v_mul_f64 v[176:177], v[112:113], s[18:19]
	v_fmac_f64_e32 v[170:171], s[0:1], v[92:93]
	v_add_f64 v[122:123], v[174:175], v[122:123]
	v_mul_f64 v[174:175], v[110:111], s[26:27]
	v_fma_f64 v[178:179], s[6:7], v[82:83], v[176:177]
	v_add_f64 v[122:123], v[170:171], v[122:123]
	v_mul_f64 v[172:173], v[94:95], s[36:37]
	v_fma_f64 v[170:171], s[20:21], v[84:85], v[174:175]
	v_add_f64 v[178:179], v[130:131], v[178:179]
	v_mul_f64 v[190:191], v[120:121], s[18:19]
	v_mul_f64 v[144:145], v[96:97], s[40:41]
	v_fma_f64 v[168:169], s[30:31], v[88:89], v[172:173]
	v_add_f64 v[170:171], v[170:171], v[178:179]
	v_mul_f64 v[186:187], v[118:119], s[26:27]
	v_fma_f64 v[192:193], v[102:103], s[6:7], -v[190:191]
	v_fmac_f64_e32 v[138:139], s[6:7], v[90:91]
	v_mul_f64 v[136:137], v[108:109], s[38:39]
	v_fma_f64 v[146:147], s[24:25], v[78:79], v[144:145]
	v_add_f64 v[168:169], v[168:169], v[170:171]
	v_mul_f64 v[182:183], v[116:117], s[36:37]
	v_fma_f64 v[188:189], v[100:101], s[20:21], -v[186:187]
	v_add_f64 v[192:193], v[128:129], v[192:193]
	v_fmac_f64_e32 v[134:135], s[24:25], v[86:87]
	v_add_f64 v[122:123], v[138:139], v[122:123]
	v_mul_f64 v[126:127], v[132:133], s[28:29]
	v_fma_f64 v[138:139], s[16:17], v[72:73], v[136:137]
	v_add_f64 v[146:147], v[146:147], v[168:169]
	v_mul_f64 v[178:179], v[114:115], s[40:41]
	v_fma_f64 v[184:185], v[98:99], s[30:31], -v[182:183]
	v_add_f64 v[188:189], v[188:189], v[192:193]
	v_add_f64 v[122:123], v[134:135], v[122:123]
	v_fma_f64 v[134:135], s[0:1], v[62:63], v[126:127]
	v_add_f64 v[138:139], v[138:139], v[146:147]
	v_mul_f64 v[146:147], v[106:107], s[38:39]
	v_fma_f64 v[180:181], v[92:93], s[24:25], -v[178:179]
	v_add_f64 v[184:185], v[184:185], v[188:189]
	v_add_f64 v[170:171], v[134:135], v[138:139]
	v_mul_f64 v[134:135], v[104:105], s[28:29]
	v_fma_f64 v[168:169], v[90:91], s[16:17], -v[146:147]
	v_add_f64 v[180:181], v[180:181], v[184:185]
	v_fma_f64 v[138:139], v[86:87], s[0:1], -v[134:135]
	v_add_f64 v[168:169], v[168:169], v[180:181]
	v_add_f64 v[168:169], v[138:139], v[168:169]
	v_fma_f64 v[138:139], v[78:79], s[24:25], -v[144:145]
	v_fma_f64 v[144:145], v[88:89], s[30:31], -v[172:173]
	;; [unrolled: 1-line block ×4, first 2 shown]
	v_add_f64 v[174:175], v[130:131], v[174:175]
	v_add_f64 v[172:173], v[172:173], v[174:175]
	;; [unrolled: 1-line block ×3, first 2 shown]
	v_fma_f64 v[136:137], v[72:73], s[16:17], -v[136:137]
	v_add_f64 v[138:139], v[138:139], v[144:145]
	v_fma_f64 v[126:127], v[62:63], s[0:1], -v[126:127]
	v_add_f64 v[136:137], v[136:137], v[138:139]
	v_fmac_f64_e32 v[190:191], s[6:7], v[102:103]
	v_add_f64 v[254:255], v[126:127], v[136:137]
	v_fmac_f64_e32 v[186:187], s[20:21], v[100:101]
	;; [unrolled: 2-line block ×5, first 2 shown]
	v_add_f64 v[126:127], v[178:179], v[126:127]
	v_mul_f64 v[112:113], v[112:113], s[14:15]
	v_add_f64 v[126:127], v[146:147], v[126:127]
	v_mul_f64 v[110:111], v[110:111], s[18:19]
	v_fma_f64 v[146:147], s[0:1], v[82:83], v[112:113]
	v_fma_f64 v[82:83], v[82:83], s[0:1], -v[112:113]
	v_mul_f64 v[138:139], v[94:95], s[22:23]
	v_fma_f64 v[144:145], s[6:7], v[84:85], v[110:111]
	v_fma_f64 v[84:85], v[84:85], s[6:7], -v[110:111]
	v_add_f64 v[82:83], v[130:131], v[82:83]
	v_mul_f64 v[136:137], v[96:97], s[26:27]
	v_fma_f64 v[94:95], s[16:17], v[88:89], v[138:139]
	v_fma_f64 v[88:89], v[88:89], s[16:17], -v[138:139]
	v_add_f64 v[82:83], v[84:85], v[82:83]
	v_fmac_f64_e32 v[134:135], s[0:1], v[86:87]
	v_mul_f64 v[108:109], v[108:109], s[34:35]
	v_fma_f64 v[96:97], s[20:21], v[78:79], v[136:137]
	v_fma_f64 v[78:79], v[78:79], s[20:21], -v[136:137]
	v_add_f64 v[82:83], v[88:89], v[82:83]
	v_add_f64 v[252:253], v[134:135], v[126:127]
	v_mul_f64 v[126:127], v[132:133], s[36:37]
	v_fma_f64 v[134:135], s[24:25], v[72:73], v[108:109]
	v_add_f64 v[146:147], v[130:131], v[146:147]
	v_mul_f64 v[120:121], v[120:121], s[14:15]
	v_fma_f64 v[72:73], v[72:73], s[24:25], -v[108:109]
	v_add_f64 v[78:79], v[78:79], v[82:83]
	v_fma_f64 v[132:133], s[30:31], v[62:63], v[126:127]
	v_add_f64 v[144:145], v[144:145], v[146:147]
	v_mul_f64 v[118:119], v[118:119], s[18:19]
	v_fma_f64 v[172:173], v[102:103], s[0:1], -v[120:121]
	v_fma_f64 v[62:63], v[62:63], s[30:31], -v[126:127]
	v_add_f64 v[72:73], v[72:73], v[78:79]
	v_fmac_f64_e32 v[120:121], s[0:1], v[102:103]
	v_add_f64 v[94:95], v[94:95], v[144:145]
	v_mul_f64 v[116:117], v[116:117], s[22:23]
	v_fma_f64 v[146:147], v[100:101], s[6:7], -v[118:119]
	v_add_f64 v[84:85], v[62:63], v[72:73]
	v_fmac_f64_e32 v[118:119], s[6:7], v[100:101]
	v_add_f64 v[62:63], v[128:129], v[120:121]
	v_add_f64 v[94:95], v[96:97], v[94:95]
	v_mul_f64 v[114:115], v[114:115], s[26:27]
	v_fma_f64 v[144:145], v[98:99], s[16:17], -v[116:117]
	v_fmac_f64_e32 v[116:117], s[16:17], v[98:99]
	v_add_f64 v[62:63], v[118:119], v[62:63]
	v_add_f64 v[94:95], v[134:135], v[94:95]
	v_mul_f64 v[106:107], v[106:107], s[34:35]
	v_fma_f64 v[134:135], v[92:93], s[20:21], -v[114:115]
	;; [unrolled: 5-line block ×3, first 2 shown]
	v_fmac_f64_e32 v[106:107], s[24:25], v[90:91]
	v_add_f64 v[62:63], v[114:115], v[62:63]
	v_fma_f64 v[94:95], v[86:87], s[30:31], -v[104:105]
	v_fmac_f64_e32 v[104:105], s[30:31], v[86:87]
	v_add_f64 v[62:63], v[106:107], v[62:63]
	v_add_f64 v[82:83], v[104:105], v[62:63]
	;; [unrolled: 1-line block ×25, first 2 shown]
	v_accvgpr_read_b32 v28, a108
	v_add_f64 v[144:145], v[144:145], v[146:147]
	v_add_f64 v[36:37], v[36:37], v[60:61]
	v_mul_u32_u24_e32 v28, 52, v28
	v_accvgpr_read_b32 v29, a3
	v_add_f64 v[134:135], v[134:135], v[144:145]
	v_add_f64 v[36:37], v[36:37], v[70:71]
	v_or_b32_e32 v28, v28, v29
	v_add_f64 v[132:133], v[132:133], v[134:135]
	v_add_f64 v[36:37], v[36:37], v[76:77]
	v_lshlrev_b32_e32 v28, 4, v28
	v_add_f64 v[94:95], v[94:95], v[132:133]
	ds_write_b128 v28, v[34:37]
	ds_write_b128 v28, v[82:85] offset:64
	ds_write_b128 v28, v[252:255] offset:128
	ds_write_b128 v28, v[122:125] offset:192
	ds_write_b128 v28, v[20:23] offset:256
	ds_write_b128 v28, v[12:15] offset:320
	ds_write_b128 v28, v[4:7] offset:384
	ds_write_b128 v28, v[0:3] offset:448
	ds_write_b128 v28, v[8:11] offset:512
	ds_write_b128 v28, v[16:19] offset:576
	ds_write_b128 v28, v[24:27] offset:640
	ds_write_b128 v28, v[168:171] offset:704
	ds_write_b128 v28, v[94:97] offset:768
.LBB0_29:
	s_or_b64 exec, exec, s[48:49]
	s_waitcnt lgkmcnt(0)
	; wave barrier
	s_waitcnt lgkmcnt(0)
	ds_read_b128 v[4:7], v200 offset:4992
	ds_read_b128 v[8:11], v200 offset:5824
	;; [unrolled: 1-line block ×12, first 2 shown]
	s_waitcnt lgkmcnt(7)
	v_mul_f64 v[68:69], v[162:163], v[22:23]
	v_mul_f64 v[74:75], v[154:155], v[6:7]
	v_fmac_f64_e32 v[68:69], v[160:161], v[20:21]
	v_mul_f64 v[20:21], v[162:163], v[20:21]
	v_fmac_f64_e32 v[74:75], v[152:153], v[4:5]
	v_mul_f64 v[4:5], v[154:155], v[4:5]
	v_fma_f64 v[70:71], v[160:161], v[22:23], -v[20:21]
	s_waitcnt lgkmcnt(5)
	v_mul_f64 v[62:63], v[162:163], v[26:27]
	v_mul_f64 v[20:21], v[162:163], v[24:25]
	v_fma_f64 v[76:77], v[152:153], v[6:7], -v[4:5]
	s_waitcnt lgkmcnt(3)
	v_mul_f64 v[4:5], v[150:151], v[36:37]
	v_fmac_f64_e32 v[62:63], v[160:161], v[24:25]
	v_fma_f64 v[72:73], v[160:161], v[26:27], -v[20:21]
	ds_read_b128 v[20:23], v200 offset:12480
	ds_read_b128 v[24:27], v200 offset:11648
	v_fma_f64 v[80:81], v[148:149], v[38:39], -v[4:5]
	v_mul_f64 v[4:5], v[154:155], v[8:9]
	v_mul_f64 v[82:83], v[154:155], v[10:11]
	v_fma_f64 v[84:85], v[152:153], v[10:11], -v[4:5]
	s_waitcnt lgkmcnt(3)
	v_mul_f64 v[4:5], v[150:151], v[40:41]
	v_fmac_f64_e32 v[82:83], v[152:153], v[8:9]
	v_fma_f64 v[88:89], v[148:149], v[42:43], -v[4:5]
	ds_read_b128 v[4:7], v200 offset:13312
	ds_read_b128 v[8:11], v200 offset:14144
	v_mul_f64 v[90:91], v[142:143], v[14:15]
	v_fmac_f64_e32 v[90:91], v[140:141], v[12:13]
	v_mul_f64 v[12:13], v[142:143], v[12:13]
	v_fma_f64 v[92:93], v[140:141], v[14:15], -v[12:13]
	s_waitcnt lgkmcnt(3)
	v_mul_f64 v[94:95], v[166:167], v[22:23]
	v_mul_f64 v[12:13], v[166:167], v[20:21]
	v_fmac_f64_e32 v[94:95], v[164:165], v[20:21]
	v_fma_f64 v[20:21], v[164:165], v[22:23], -v[12:13]
	v_mul_f64 v[12:13], v[142:143], v[16:17]
	v_fma_f64 v[98:99], v[140:141], v[18:19], -v[12:13]
	s_waitcnt lgkmcnt(1)
	v_mul_f64 v[100:101], v[166:167], v[6:7]
	ds_read_b128 v[12:15], v200 offset:14976
	v_fmac_f64_e32 v[100:101], v[164:165], v[4:5]
	v_mul_f64 v[4:5], v[166:167], v[4:5]
	v_fma_f64 v[102:103], v[164:165], v[6:7], -v[4:5]
	ds_read_b128 v[4:7], v200 offset:15808
	v_mul_f64 v[96:97], v[142:143], v[18:19]
	v_fmac_f64_e32 v[96:97], v[140:141], v[16:17]
	s_waitcnt lgkmcnt(1)
	v_mul_f64 v[16:17], v[158:159], v[14:15]
	v_fmac_f64_e32 v[16:17], v[156:157], v[12:13]
	v_mul_f64 v[12:13], v[158:159], v[12:13]
	v_fma_f64 v[18:19], v[156:157], v[14:15], -v[12:13]
	s_waitcnt lgkmcnt(0)
	v_mul_f64 v[104:105], v[158:159], v[6:7]
	v_accvgpr_read_b32 v12, a146
	v_fmac_f64_e32 v[104:105], v[156:157], v[4:5]
	v_mul_f64 v[4:5], v[158:159], v[4:5]
	v_accvgpr_read_b32 v14, a148
	v_accvgpr_read_b32 v15, a149
	v_mul_f64 v[78:79], v[150:151], v[38:39]
	v_fma_f64 v[106:107], v[156:157], v[6:7], -v[4:5]
	v_accvgpr_read_b32 v13, a147
	v_mul_f64 v[38:39], v[14:15], v[30:31]
	v_mul_f64 v[4:5], v[14:15], v[28:29]
	;; [unrolled: 1-line block ×3, first 2 shown]
	v_fmac_f64_e32 v[38:39], v[12:13], v[28:29]
	v_fma_f64 v[42:43], v[12:13], v[30:31], -v[4:5]
	v_accvgpr_read_b32 v12, a142
	v_accvgpr_read_b32 v14, a144
	;; [unrolled: 1-line block ×4, first 2 shown]
	v_fmac_f64_e32 v[86:87], v[148:149], v[40:41]
	v_accvgpr_read_b32 v13, a143
	v_mul_f64 v[40:41], v[14:15], v[46:47]
	v_mul_f64 v[4:5], v[14:15], v[44:45]
	v_accvgpr_read_b32 v30, a136
	v_accvgpr_read_b32 v31, a137
	v_fmac_f64_e32 v[40:41], v[12:13], v[44:45]
	v_fma_f64 v[44:45], v[12:13], v[46:47], -v[4:5]
	v_accvgpr_read_b32 v29, a135
	v_mul_f64 v[46:47], v[30:31], v[50:51]
	v_mul_f64 v[12:13], v[30:31], v[48:49]
	v_fmac_f64_e32 v[46:47], v[28:29], v[48:49]
	v_fma_f64 v[48:49], v[28:29], v[50:51], -v[12:13]
	v_accvgpr_read_b32 v28, a126
	v_accvgpr_read_b32 v30, a128
	;; [unrolled: 1-line block ×4, first 2 shown]
	v_mul_f64 v[50:51], v[30:31], v[26:27]
	v_mul_f64 v[22:23], v[30:31], v[24:25]
	v_fmac_f64_e32 v[50:51], v[28:29], v[24:25]
	v_fma_f64 v[52:53], v[28:29], v[26:27], -v[22:23]
	v_accvgpr_read_b32 v22, a138
	ds_read_b128 v[4:7], v200
	ds_read_b128 v[64:67], v200 offset:832
	ds_read_b128 v[12:15], v200 offset:16640
	v_accvgpr_read_b32 v24, a140
	v_accvgpr_read_b32 v25, a141
	;; [unrolled: 1-line block ×3, first 2 shown]
	v_mul_f64 v[54:55], v[24:25], v[10:11]
	v_fmac_f64_e32 v[54:55], v[22:23], v[8:9]
	v_mul_f64 v[8:9], v[24:25], v[8:9]
	v_fma_f64 v[56:57], v[22:23], v[10:11], -v[8:9]
	v_accvgpr_read_b32 v22, a130
	v_accvgpr_read_b32 v24, a132
	;; [unrolled: 1-line block ×4, first 2 shown]
	s_waitcnt lgkmcnt(0)
	v_mul_f64 v[58:59], v[24:25], v[14:15]
	v_mul_f64 v[8:9], v[24:25], v[12:13]
	v_fmac_f64_e32 v[78:79], v[148:149], v[36:37]
	v_fmac_f64_e32 v[58:59], v[22:23], v[12:13]
	v_fma_f64 v[60:61], v[22:23], v[14:15], -v[8:9]
	v_add_f64 v[8:9], v[68:69], v[16:17]
	v_add_f64 v[12:13], v[68:69], -v[16:17]
	v_add_f64 v[16:17], v[74:75], v[94:95]
	v_accvgpr_read_b32 v138, a28
	v_add_f64 v[10:11], v[70:71], v[18:19]
	v_add_f64 v[14:15], v[70:71], -v[18:19]
	v_add_f64 v[18:19], v[76:77], v[20:21]
	v_add_f64 v[24:25], v[78:79], v[90:91]
	;; [unrolled: 1-line block ×3, first 2 shown]
	v_mad_u64_u32 v[34:35], s[0:1], s10, v138, 0
	v_add_f64 v[22:23], v[74:75], -v[94:95]
	v_add_f64 v[26:27], v[80:81], v[92:93]
	v_add_f64 v[70:71], v[18:19], v[10:11]
	v_add_f64 v[74:75], v[16:17], -v[8:9]
	v_add_f64 v[8:9], v[8:9], -v[24:25]
	;; [unrolled: 1-line block ×3, first 2 shown]
	v_add_f64 v[24:25], v[24:25], v[68:69]
	v_mov_b32_e32 v32, s12
	v_mov_b32_e32 v33, s13
	v_add_f64 v[20:21], v[76:77], -v[20:21]
	v_add_f64 v[28:29], v[90:91], -v[78:79]
	;; [unrolled: 1-line block ×6, first 2 shown]
	v_add_f64 v[26:27], v[26:27], v[70:71]
	v_add_f64 v[4:5], v[4:5], v[24:25]
	s_mov_b32 s2, 0x37e14327
	s_mov_b32 s0, 0x36b3c0b5
	;; [unrolled: 1-line block ×5, first 2 shown]
	v_add_f64 v[78:79], v[28:29], v[22:23]
	v_add_f64 v[80:81], v[30:31], v[20:21]
	v_add_f64 v[90:91], v[28:29], -v[22:23]
	v_add_f64 v[92:93], v[30:31], -v[20:21]
	;; [unrolled: 1-line block ×3, first 2 shown]
	v_add_f64 v[6:7], v[6:7], v[26:27]
	s_mov_b32 s3, 0x3fe948f6
	s_mov_b32 s1, 0x3fac98ee
	;; [unrolled: 1-line block ×5, first 2 shown]
	v_mov_b64_e32 v[94:95], v[4:5]
	s_mov_b32 s16, 0x5476071b
	s_mov_b32 s20, 0xb247c609
	v_add_f64 v[28:29], v[12:13], -v[28:29]
	v_add_f64 v[30:31], v[14:15], -v[30:31]
	;; [unrolled: 1-line block ×3, first 2 shown]
	v_add_f64 v[12:13], v[78:79], v[12:13]
	v_add_f64 v[14:15], v[80:81], v[14:15]
	v_mul_f64 v[8:9], v[8:9], s[2:3]
	v_mul_f64 v[10:11], v[10:11], s[2:3]
	;; [unrolled: 1-line block ×7, first 2 shown]
	v_fmac_f64_e32 v[94:95], s[14:15], v[24:25]
	v_mov_b64_e32 v[24:25], v[6:7]
	s_mov_b32 s17, 0x3fe77f67
	s_mov_b32 s19, 0xbfe77f67
	;; [unrolled: 1-line block ×7, first 2 shown]
	v_mul_f64 v[92:93], v[20:21], s[6:7]
	v_fmac_f64_e32 v[24:25], s[14:15], v[26:27]
	v_fma_f64 v[26:27], v[74:75], s[16:17], -v[68:69]
	v_fma_f64 v[68:69], v[76:77], s[16:17], -v[70:71]
	;; [unrolled: 1-line block ×3, first 2 shown]
	v_fmac_f64_e32 v[8:9], s[0:1], v[16:17]
	v_fma_f64 v[16:17], v[76:77], s[18:19], -v[10:11]
	v_fma_f64 v[22:23], v[22:23], s[6:7], -v[78:79]
	v_fmac_f64_e32 v[78:79], s[20:21], v[28:29]
	v_fma_f64 v[20:21], v[20:21], s[6:7], -v[80:81]
	v_fmac_f64_e32 v[80:81], s[20:21], v[30:31]
	v_fma_f64 v[28:29], v[28:29], s[24:25], -v[90:91]
	s_mov_b32 s23, 0xbfdc38aa
	v_fmac_f64_e32 v[10:11], s[0:1], v[18:19]
	v_fma_f64 v[30:31], v[30:31], s[24:25], -v[92:93]
	v_add_f64 v[74:75], v[8:9], v[94:95]
	v_add_f64 v[26:27], v[26:27], v[94:95]
	;; [unrolled: 1-line block ×4, first 2 shown]
	v_fmac_f64_e32 v[80:81], s[22:23], v[14:15]
	v_fmac_f64_e32 v[22:23], s[22:23], v[12:13]
	;; [unrolled: 1-line block ×4, first 2 shown]
	v_add_f64 v[76:77], v[10:11], v[24:25]
	v_add_f64 v[70:71], v[70:71], v[94:95]
	v_fmac_f64_e32 v[78:79], s[22:23], v[12:13]
	v_fmac_f64_e32 v[30:31], s[22:23], v[14:15]
	v_add_f64 v[8:9], v[80:81], v[74:75]
	v_add_f64 v[14:15], v[90:91], -v[28:29]
	v_add_f64 v[16:17], v[26:27], -v[20:21]
	v_add_f64 v[18:19], v[22:23], v[68:69]
	v_add_f64 v[20:21], v[20:21], v[26:27]
	v_add_f64 v[22:23], v[68:69], -v[22:23]
	v_add_f64 v[26:27], v[28:29], v[90:91]
	v_add_f64 v[28:29], v[74:75], -v[80:81]
	v_add_f64 v[68:69], v[62:63], v[104:105]
	v_add_f64 v[74:75], v[82:83], v[100:101]
	v_add_f64 v[10:11], v[76:77], -v[78:79]
	v_add_f64 v[12:13], v[30:31], v[70:71]
	v_add_f64 v[24:25], v[70:71], -v[30:31]
	v_add_f64 v[30:31], v[78:79], v[76:77]
	v_add_f64 v[70:71], v[72:73], v[106:107]
	;; [unrolled: 1-line block ×3, first 2 shown]
	v_add_f64 v[78:79], v[82:83], -v[100:101]
	v_add_f64 v[82:83], v[86:87], v[96:97]
	v_add_f64 v[86:87], v[96:97], -v[86:87]
	v_add_f64 v[90:91], v[74:75], v[68:69]
	v_add_f64 v[62:63], v[62:63], -v[104:105]
	v_add_f64 v[80:81], v[84:85], -v[102:103]
	v_add_f64 v[84:85], v[88:89], v[98:99]
	v_add_f64 v[88:89], v[98:99], -v[88:89]
	v_add_f64 v[92:93], v[76:77], v[70:71]
	v_add_f64 v[94:95], v[74:75], -v[68:69]
	v_add_f64 v[68:69], v[68:69], -v[82:83]
	;; [unrolled: 1-line block ×3, first 2 shown]
	v_add_f64 v[98:99], v[86:87], v[78:79]
	v_add_f64 v[82:83], v[82:83], v[90:91]
	v_add_f64 v[72:73], v[72:73], -v[106:107]
	v_add_f64 v[96:97], v[76:77], -v[70:71]
	;; [unrolled: 1-line block ×7, first 2 shown]
	v_add_f64 v[84:85], v[84:85], v[92:93]
	v_add_f64 v[90:91], v[98:99], v[62:63]
	;; [unrolled: 1-line block ×4, first 2 shown]
	v_add_f64 v[104:105], v[88:89], -v[80:81]
	v_add_f64 v[80:81], v[80:81], -v[72:73]
	v_add_f64 v[64:65], v[66:67], v[84:85]
	v_mov_b64_e32 v[106:107], v[62:63]
	v_add_f64 v[88:89], v[72:73], -v[88:89]
	v_add_f64 v[72:73], v[100:101], v[72:73]
	v_mul_f64 v[66:67], v[68:69], s[2:3]
	v_mul_f64 v[68:69], v[70:71], s[2:3]
	;; [unrolled: 1-line block ×8, first 2 shown]
	v_fmac_f64_e32 v[106:107], s[14:15], v[82:83]
	v_mov_b64_e32 v[82:83], v[64:65]
	v_fmac_f64_e32 v[82:83], s[14:15], v[84:85]
	v_fma_f64 v[70:71], v[94:95], s[16:17], -v[70:71]
	v_fma_f64 v[84:85], v[96:97], s[16:17], -v[92:93]
	;; [unrolled: 1-line block ×4, first 2 shown]
	v_fmac_f64_e32 v[98:99], s[20:21], v[86:87]
	v_fma_f64 v[78:79], v[80:81], s[6:7], -v[100:101]
	v_fmac_f64_e32 v[100:101], s[20:21], v[88:89]
	v_fma_f64 v[86:87], v[86:87], s[24:25], -v[102:103]
	v_fma_f64 v[88:89], v[88:89], s[24:25], -v[104:105]
	v_fmac_f64_e32 v[66:67], s[0:1], v[74:75]
	v_fma_f64 v[74:75], v[96:97], s[18:19], -v[68:69]
	v_fmac_f64_e32 v[68:69], s[0:1], v[76:77]
	v_add_f64 v[92:93], v[92:93], v[106:107]
	v_fmac_f64_e32 v[98:99], s[22:23], v[90:91]
	v_fmac_f64_e32 v[94:95], s[22:23], v[90:91]
	;; [unrolled: 1-line block ×4, first 2 shown]
	v_add_f64 v[90:91], v[38:39], v[58:59]
	v_add_f64 v[38:39], v[38:39], -v[58:59]
	v_add_f64 v[58:59], v[40:41], v[54:55]
	v_add_f64 v[102:103], v[68:69], v[82:83]
	;; [unrolled: 1-line block ×6, first 2 shown]
	v_add_f64 v[82:83], v[92:93], -v[88:89]
	v_add_f64 v[92:93], v[42:43], v[60:61]
	v_add_f64 v[42:43], v[42:43], -v[60:61]
	v_add_f64 v[60:61], v[44:45], v[56:57]
	;; [unrolled: 2-line block ×6, first 2 shown]
	v_add_f64 v[50:51], v[54:55], v[50:51]
	v_add_f64 v[96:97], v[66:67], v[106:107]
	v_fmac_f64_e32 v[100:101], s[22:23], v[72:73]
	v_fmac_f64_e32 v[78:79], s[22:23], v[72:73]
	v_add_f64 v[52:53], v[56:57], v[52:53]
	v_add_f64 v[0:1], v[0:1], v[50:51]
	;; [unrolled: 1-line block ×3, first 2 shown]
	v_add_f64 v[68:69], v[102:103], -v[98:99]
	v_add_f64 v[72:73], v[104:105], -v[86:87]
	;; [unrolled: 1-line block ×3, first 2 shown]
	v_add_f64 v[76:77], v[94:95], v[84:85]
	v_add_f64 v[78:79], v[78:79], v[80:81]
	v_add_f64 v[80:81], v[84:85], -v[94:95]
	v_add_f64 v[84:85], v[86:87], v[104:105]
	v_add_f64 v[86:87], v[96:97], -v[100:101]
	;; [unrolled: 2-line block ×3, first 2 shown]
	v_add_f64 v[96:97], v[60:61], -v[92:93]
	v_add_f64 v[90:91], v[90:91], -v[54:55]
	;; [unrolled: 1-line block ×5, first 2 shown]
	v_add_f64 v[98:99], v[46:47], v[40:41]
	v_add_f64 v[100:101], v[48:49], v[44:45]
	v_add_f64 v[102:103], v[46:47], -v[40:41]
	v_add_f64 v[104:105], v[48:49], -v[44:45]
	;; [unrolled: 1-line block ×4, first 2 shown]
	v_add_f64 v[2:3], v[2:3], v[52:53]
	v_mov_b64_e32 v[106:107], v[0:1]
	v_add_f64 v[46:47], v[38:39], -v[46:47]
	v_add_f64 v[48:49], v[42:43], -v[48:49]
	v_add_f64 v[38:39], v[98:99], v[38:39]
	v_add_f64 v[42:43], v[100:101], v[42:43]
	v_mul_f64 v[54:55], v[90:91], s[2:3]
	v_mul_f64 v[56:57], v[92:93], s[2:3]
	;; [unrolled: 1-line block ×8, first 2 shown]
	v_fmac_f64_e32 v[106:107], s[14:15], v[50:51]
	v_mov_b64_e32 v[50:51], v[2:3]
	v_fmac_f64_e32 v[50:51], s[14:15], v[52:53]
	v_fma_f64 v[52:53], s[0:1], v[58:59], v[54:55]
	v_fma_f64 v[58:59], v[94:95], s[16:17], -v[90:91]
	v_fma_f64 v[90:91], v[96:97], s[16:17], -v[92:93]
	;; [unrolled: 1-line block ×4, first 2 shown]
	v_fmac_f64_e32 v[56:57], s[0:1], v[60:61]
	v_fma_f64 v[60:61], s[20:21], v[46:47], v[98:99]
	v_fma_f64 v[94:95], v[40:41], s[6:7], -v[98:99]
	v_fma_f64 v[96:97], v[44:45], s[6:7], -v[100:101]
	v_fmac_f64_e32 v[100:101], s[20:21], v[48:49]
	v_fma_f64 v[98:99], v[46:47], s[24:25], -v[102:103]
	v_fma_f64 v[102:103], v[48:49], s[24:25], -v[104:105]
	v_add_f64 v[104:105], v[52:53], v[106:107]
	v_add_f64 v[108:109], v[56:57], v[50:51]
	;; [unrolled: 1-line block ×6, first 2 shown]
	v_fmac_f64_e32 v[60:61], s[22:23], v[38:39]
	v_fmac_f64_e32 v[100:101], s[22:23], v[42:43]
	;; [unrolled: 1-line block ×6, first 2 shown]
	v_add_f64 v[38:39], v[100:101], v[104:105]
	v_add_f64 v[40:41], v[108:109], -v[60:61]
	v_add_f64 v[42:43], v[102:103], v[54:55]
	v_add_f64 v[44:45], v[58:59], -v[98:99]
	v_add_f64 v[46:47], v[52:53], -v[96:97]
	v_add_f64 v[48:49], v[94:95], v[56:57]
	v_add_f64 v[50:51], v[96:97], v[52:53]
	v_add_f64 v[52:53], v[56:57], -v[94:95]
	v_add_f64 v[54:55], v[54:55], -v[102:103]
	v_add_f64 v[56:57], v[98:99], v[58:59]
	v_add_f64 v[58:59], v[104:105], -v[100:101]
	v_add_f64 v[60:61], v[60:61], v[108:109]
	v_accvgpr_read_b32 v92, a150
	s_waitcnt lgkmcnt(0)
	; wave barrier
	ds_write_b128 v200, v[4:7]
	ds_write_b128 v200, v[8:11] offset:832
	ds_write_b128 v200, v[12:15] offset:1664
	;; [unrolled: 1-line block ×20, first 2 shown]
	s_waitcnt lgkmcnt(0)
	; wave barrier
	s_waitcnt lgkmcnt(0)
	ds_read_b128 v[0:3], v200
	ds_read_b128 v[4:7], v200 offset:832
	ds_read_b128 v[28:31], v200 offset:11648
	;; [unrolled: 1-line block ×20, first 2 shown]
	v_accvgpr_read_b32 v94, a152
	v_accvgpr_read_b32 v95, a153
	;; [unrolled: 1-line block ×3, first 2 shown]
	s_waitcnt lgkmcnt(4)
	v_mul_f64 v[90:91], v[94:95], v[76:77]
	v_fmac_f64_e32 v[90:91], v[92:93], v[74:75]
	v_mul_f64 v[74:75], v[94:95], v[74:75]
	v_fma_f64 v[74:75], v[92:93], v[76:77], -v[74:75]
	v_accvgpr_read_b32 v92, a154
	v_accvgpr_read_b32 v94, a156
	;; [unrolled: 1-line block ×4, first 2 shown]
	v_mul_f64 v[76:77], v[94:95], v[30:31]
	v_accvgpr_read_b32 v96, a158
	v_fmac_f64_e32 v[76:77], v[92:93], v[28:29]
	v_mul_f64 v[28:29], v[94:95], v[28:29]
	v_accvgpr_read_b32 v98, a160
	v_accvgpr_read_b32 v99, a161
	v_fma_f64 v[92:93], v[92:93], v[30:31], -v[28:29]
	v_accvgpr_read_b32 v97, a159
	v_mul_f64 v[94:95], v[98:99], v[44:45]
	v_mul_f64 v[28:29], v[98:99], v[42:43]
	v_fmac_f64_e32 v[94:95], v[96:97], v[42:43]
	v_fma_f64 v[96:97], v[96:97], v[44:45], -v[28:29]
	v_accvgpr_read_b32 v42, a162
	v_accvgpr_read_b32 v44, a164
	;; [unrolled: 1-line block ×4, first 2 shown]
	v_mul_f64 v[28:29], v[44:45], v[38:39]
	v_fma_f64 v[100:101], v[42:43], v[40:41], -v[28:29]
	v_mul_f64 v[28:29], v[214:215], v[46:47]
	v_fma_f64 v[104:105], v[212:213], v[48:49], -v[28:29]
	;; [unrolled: 2-line block ×7, first 2 shown]
	s_waitcnt lgkmcnt(2)
	v_mul_f64 v[28:29], v[238:239], v[78:79]
	v_mul_f64 v[126:127], v[238:239], v[80:81]
	v_fma_f64 v[80:81], v[236:237], v[80:81], -v[28:29]
	v_mul_f64 v[28:29], v[242:243], v[70:71]
	v_fma_f64 v[130:131], v[240:241], v[72:73], -v[28:29]
	s_waitcnt lgkmcnt(1)
	v_mul_f64 v[28:29], v[246:247], v[82:83]
	v_mul_f64 v[98:99], v[44:45], v[40:41]
	v_fma_f64 v[134:135], v[244:245], v[84:85], -v[28:29]
	s_waitcnt lgkmcnt(0)
	v_mul_f64 v[28:29], v[250:251], v[86:87]
	v_add_f64 v[30:31], v[90:91], v[76:77]
	s_mov_b32 s0, 0xe8584caa
	v_fmac_f64_e32 v[98:99], v[42:43], v[38:39]
	v_mul_f64 v[136:137], v[250:251], v[88:89]
	v_fma_f64 v[88:89], v[248:249], v[88:89], -v[28:29]
	v_add_f64 v[28:29], v[0:1], v[90:91]
	v_fmac_f64_e32 v[0:1], -0.5, v[30:31]
	v_add_f64 v[30:31], v[74:75], -v[92:93]
	s_mov_b32 s1, 0xbfebb67a
	s_mov_b32 s3, 0x3febb67a
	;; [unrolled: 1-line block ×3, first 2 shown]
	v_add_f64 v[40:41], v[74:75], v[92:93]
	v_mul_f64 v[102:103], v[214:215], v[48:49]
	v_mul_f64 v[106:107], v[218:219], v[52:53]
	v_fma_f64 v[38:39], s[0:1], v[30:31], v[0:1]
	v_fmac_f64_e32 v[0:1], s[2:3], v[30:31]
	v_add_f64 v[30:31], v[2:3], v[74:75]
	v_fmac_f64_e32 v[2:3], -0.5, v[40:41]
	v_add_f64 v[42:43], v[90:91], -v[76:77]
	v_add_f64 v[44:45], v[94:95], v[98:99]
	v_fmac_f64_e32 v[102:103], v[212:213], v[46:47]
	v_fmac_f64_e32 v[106:107], v[216:217], v[50:51]
	v_fma_f64 v[40:41], s[2:3], v[42:43], v[2:3]
	v_fmac_f64_e32 v[2:3], s[0:1], v[42:43]
	v_add_f64 v[42:43], v[4:5], v[94:95]
	v_fmac_f64_e32 v[4:5], -0.5, v[44:45]
	v_add_f64 v[44:45], v[96:97], -v[100:101]
	v_add_f64 v[48:49], v[96:97], v[100:101]
	v_mul_f64 v[110:111], v[222:223], v[60:61]
	v_mul_f64 v[114:115], v[226:227], v[56:57]
	v_fma_f64 v[46:47], s[0:1], v[44:45], v[4:5]
	v_fmac_f64_e32 v[4:5], s[2:3], v[44:45]
	v_add_f64 v[44:45], v[6:7], v[96:97]
	v_fmac_f64_e32 v[6:7], -0.5, v[48:49]
	v_add_f64 v[50:51], v[94:95], -v[98:99]
	v_add_f64 v[52:53], v[102:103], v[106:107]
	v_fmac_f64_e32 v[110:111], v[220:221], v[58:59]
	v_fmac_f64_e32 v[114:115], v[224:225], v[54:55]
	v_fma_f64 v[48:49], s[2:3], v[50:51], v[6:7]
	v_fmac_f64_e32 v[6:7], s[0:1], v[50:51]
	v_add_f64 v[50:51], v[8:9], v[102:103]
	v_fmac_f64_e32 v[8:9], -0.5, v[52:53]
	v_add_f64 v[52:53], v[104:105], -v[108:109]
	;; [unrolled: 16-line block ×3, first 2 shown]
	v_add_f64 v[64:65], v[112:113], v[116:117]
	v_mul_f64 v[128:129], v[242:243], v[72:73]
	v_fma_f64 v[62:63], s[0:1], v[60:61], v[12:13]
	v_fmac_f64_e32 v[12:13], s[2:3], v[60:61]
	v_add_f64 v[60:61], v[14:15], v[112:113]
	v_fmac_f64_e32 v[14:15], -0.5, v[64:65]
	v_add_f64 v[66:67], v[110:111], -v[114:115]
	v_add_f64 v[68:69], v[118:119], v[122:123]
	v_fmac_f64_e32 v[126:127], v[236:237], v[78:79]
	v_fmac_f64_e32 v[128:129], v[240:241], v[70:71]
	v_fma_f64 v[64:65], s[2:3], v[66:67], v[14:15]
	v_fmac_f64_e32 v[14:15], s[0:1], v[66:67]
	v_add_f64 v[66:67], v[16:17], v[118:119]
	v_fmac_f64_e32 v[16:17], -0.5, v[68:69]
	v_add_f64 v[68:69], v[120:121], -v[124:125]
	v_add_f64 v[72:73], v[120:121], v[124:125]
	v_add_f64 v[28:29], v[28:29], v[76:77]
	v_fma_f64 v[70:71], s[0:1], v[68:69], v[16:17]
	v_fmac_f64_e32 v[16:17], s[2:3], v[68:69]
	v_add_f64 v[68:69], v[18:19], v[120:121]
	v_fmac_f64_e32 v[18:19], -0.5, v[72:73]
	v_add_f64 v[74:75], v[118:119], -v[122:123]
	v_add_f64 v[76:77], v[126:127], v[128:129]
	v_mul_f64 v[132:133], v[246:247], v[84:85]
	v_fma_f64 v[72:73], s[2:3], v[74:75], v[18:19]
	v_fmac_f64_e32 v[18:19], s[0:1], v[74:75]
	v_add_f64 v[74:75], v[20:21], v[126:127]
	v_fmac_f64_e32 v[20:21], -0.5, v[76:77]
	v_add_f64 v[76:77], v[80:81], -v[130:131]
	v_fmac_f64_e32 v[132:133], v[244:245], v[82:83]
	v_fmac_f64_e32 v[136:137], v[248:249], v[86:87]
	v_fma_f64 v[78:79], s[0:1], v[76:77], v[20:21]
	v_fmac_f64_e32 v[20:21], s[2:3], v[76:77]
	v_add_f64 v[76:77], v[22:23], v[80:81]
	v_add_f64 v[80:81], v[80:81], v[130:131]
	v_fmac_f64_e32 v[22:23], -0.5, v[80:81]
	v_add_f64 v[82:83], v[126:127], -v[128:129]
	v_add_f64 v[84:85], v[132:133], v[136:137]
	v_fma_f64 v[80:81], s[2:3], v[82:83], v[22:23]
	v_fmac_f64_e32 v[22:23], s[0:1], v[82:83]
	v_add_f64 v[82:83], v[24:25], v[132:133]
	v_fmac_f64_e32 v[24:25], -0.5, v[84:85]
	v_add_f64 v[84:85], v[134:135], -v[88:89]
	v_fma_f64 v[86:87], s[0:1], v[84:85], v[24:25]
	v_fmac_f64_e32 v[24:25], s[2:3], v[84:85]
	v_add_f64 v[84:85], v[26:27], v[134:135]
	v_add_f64 v[84:85], v[84:85], v[88:89]
	;; [unrolled: 1-line block ×4, first 2 shown]
	v_fmac_f64_e32 v[26:27], -0.5, v[88:89]
	v_add_f64 v[90:91], v[132:133], -v[136:137]
	v_add_f64 v[42:43], v[42:43], v[98:99]
	v_add_f64 v[44:45], v[44:45], v[100:101]
	;; [unrolled: 1-line block ×11, first 2 shown]
	v_fma_f64 v[88:89], s[2:3], v[90:91], v[26:27]
	v_fmac_f64_e32 v[26:27], s[0:1], v[90:91]
	ds_write_b128 v200, v[28:31]
	ds_write_b128 v200, v[38:41] offset:5824
	ds_write_b128 v200, v[0:3] offset:11648
	ds_write_b128 v200, v[42:45] offset:832
	ds_write_b128 v200, v[46:49] offset:6656
	ds_write_b128 v200, v[4:7] offset:12480
	ds_write_b128 v200, v[50:53] offset:1664
	ds_write_b128 v200, v[54:57] offset:7488
	ds_write_b128 v200, v[8:11] offset:13312
	ds_write_b128 v200, v[58:61] offset:2496
	ds_write_b128 v200, v[62:65] offset:8320
	ds_write_b128 v200, v[12:15] offset:14144
	ds_write_b128 v200, v[66:69] offset:3328
	ds_write_b128 v200, v[70:73] offset:9152
	ds_write_b128 v200, v[16:19] offset:14976
	ds_write_b128 v200, v[74:77] offset:4160
	ds_write_b128 v200, v[78:81] offset:9984
	ds_write_b128 v200, v[20:23] offset:15808
	ds_write_b128 v200, v[82:85] offset:4992
	ds_write_b128 v200, v[86:89] offset:10816
	ds_write_b128 v200, v[24:27] offset:16640
	s_waitcnt lgkmcnt(0)
	; wave barrier
	s_waitcnt lgkmcnt(0)
	ds_read_b128 v[0:3], v200
	v_mov_b32_e32 v36, v35
	v_accvgpr_read_b32 v10, a12
	v_mad_u64_u32 v[4:5], s[0:1], s11, v138, v[36:37]
	v_accvgpr_read_b32 v12, a14
	v_accvgpr_read_b32 v13, a15
	v_mov_b32_e32 v35, v4
	ds_read_b128 v[4:7], v200 offset:832
	v_accvgpr_read_b32 v11, a13
	s_waitcnt lgkmcnt(1)
	v_mul_f64 v[8:9], v[12:13], v[2:3]
	v_fmac_f64_e32 v[8:9], v[10:11], v[0:1]
	v_mul_f64 v[0:1], v[12:13], v[0:1]
	s_mov_b32 s0, 0x1e01e01e
	v_fma_f64 v[0:1], v[10:11], v[2:3], -v[0:1]
	v_accvgpr_read_b32 v2, a2
	s_mov_b32 s1, 0x3f4e01e0
	v_mad_u64_u32 v[12:13], s[2:3], s8, v2, 0
	v_mul_f64 v[10:11], v[0:1], s[0:1]
	v_mov_b32_e32 v0, v13
	v_mad_u64_u32 v[0:1], s[2:3], s9, v2, v[0:1]
	v_mov_b32_e32 v13, v0
	ds_read_b128 v[0:3], v200 offset:8736
	v_lshl_add_u64 v[14:15], v[34:35], 4, v[32:33]
	v_accvgpr_read_b32 v21, a7
	v_mul_f64 v[8:9], v[8:9], s[0:1]
	v_lshl_add_u64 v[16:17], v[12:13], 4, v[14:15]
	v_accvgpr_read_b32 v20, a6
	global_store_dwordx4 v[16:17], v[8:11], off
	ds_read_b128 v[8:11], v200 offset:9568
	v_accvgpr_read_b32 v19, a5
	v_accvgpr_read_b32 v18, a4
	s_waitcnt lgkmcnt(1)
	v_mul_f64 v[12:13], v[20:21], v[2:3]
	s_mul_i32 s2, s9, 0x222
	s_mul_hi_u32 s3, s8, 0x222
	v_fmac_f64_e32 v[12:13], v[18:19], v[0:1]
	v_mul_f64 v[0:1], v[20:21], v[0:1]
	s_add_i32 s3, s3, s2
	s_mul_i32 s2, s8, 0x222
	v_fma_f64 v[0:1], v[18:19], v[2:3], -v[0:1]
	s_lshl_b64 s[10:11], s[2:3], 4
	v_mul_f64 v[12:13], v[12:13], s[0:1]
	v_mul_f64 v[14:15], v[0:1], s[0:1]
	v_lshl_add_u64 v[16:17], v[16:17], 0, s[10:11]
	global_store_dwordx4 v[16:17], v[12:15], off
	s_mul_hi_u32 s7, s8, 0xfffffe12
	s_mul_i32 s6, s9, 0xfffffe12
	v_accvgpr_read_b32 v12, a38
	v_accvgpr_read_b32 v14, a40
	;; [unrolled: 1-line block ×3, first 2 shown]
	s_sub_i32 s7, s7, s8
	v_accvgpr_read_b32 v13, a39
	v_mul_f64 v[0:1], v[14:15], v[6:7]
	v_mul_f64 v[2:3], v[14:15], v[4:5]
	s_add_i32 s7, s7, s6
	s_mul_i32 s6, s8, 0xfffffe12
	v_fmac_f64_e32 v[0:1], v[12:13], v[4:5]
	v_fma_f64 v[2:3], v[12:13], v[6:7], -v[2:3]
	s_lshl_b64 s[8:9], s[6:7], 4
	v_accvgpr_read_b32 v4, a42
	v_mul_f64 v[0:1], v[0:1], s[0:1]
	v_mul_f64 v[2:3], v[2:3], s[0:1]
	v_lshl_add_u64 v[12:13], v[16:17], 0, s[8:9]
	v_accvgpr_read_b32 v6, a44
	v_accvgpr_read_b32 v7, a45
	global_store_dwordx4 v[12:13], v[0:3], off
	v_accvgpr_read_b32 v5, a43
	v_accvgpr_read_b32 v14, a16
	s_waitcnt lgkmcnt(0)
	v_mul_f64 v[0:1], v[6:7], v[10:11]
	v_mul_f64 v[2:3], v[6:7], v[8:9]
	v_fmac_f64_e32 v[0:1], v[4:5], v[8:9]
	v_fma_f64 v[2:3], v[4:5], v[10:11], -v[2:3]
	ds_read_b128 v[4:7], v200 offset:1664
	v_mul_f64 v[0:1], v[0:1], s[0:1]
	v_mul_f64 v[2:3], v[2:3], s[0:1]
	v_lshl_add_u64 v[12:13], v[12:13], 0, s[10:11]
	v_accvgpr_read_b32 v16, a18
	v_accvgpr_read_b32 v17, a19
	global_store_dwordx4 v[12:13], v[0:3], off
	ds_read_b128 v[0:3], v200 offset:2496
	v_accvgpr_read_b32 v15, a17
	s_waitcnt lgkmcnt(1)
	v_mul_f64 v[8:9], v[16:17], v[6:7]
	v_fmac_f64_e32 v[8:9], v[14:15], v[4:5]
	v_mul_f64 v[4:5], v[16:17], v[4:5]
	v_fma_f64 v[10:11], v[14:15], v[6:7], -v[4:5]
	ds_read_b128 v[4:7], v200 offset:10400
	v_accvgpr_read_b32 v21, a11
	v_mul_f64 v[8:9], v[8:9], s[0:1]
	v_mul_f64 v[10:11], v[10:11], s[0:1]
	v_lshl_add_u64 v[16:17], v[12:13], 0, s[8:9]
	v_accvgpr_read_b32 v20, a10
	global_store_dwordx4 v[16:17], v[8:11], off
	ds_read_b128 v[8:11], v200 offset:11232
	v_accvgpr_read_b32 v19, a9
	v_accvgpr_read_b32 v18, a8
	s_waitcnt lgkmcnt(1)
	v_mul_f64 v[12:13], v[20:21], v[6:7]
	v_fmac_f64_e32 v[12:13], v[18:19], v[4:5]
	v_mul_f64 v[4:5], v[20:21], v[4:5]
	v_fma_f64 v[4:5], v[18:19], v[6:7], -v[4:5]
	v_mul_f64 v[12:13], v[12:13], s[0:1]
	v_mul_f64 v[14:15], v[4:5], s[0:1]
	v_lshl_add_u64 v[16:17], v[16:17], 0, s[10:11]
	global_store_dwordx4 v[16:17], v[12:15], off
	v_accvgpr_read_b32 v18, a70
	v_accvgpr_read_b32 v20, a72
	v_accvgpr_read_b32 v12, a78
	v_accvgpr_read_b32 v14, a80
	v_accvgpr_read_b32 v15, a81
	v_accvgpr_read_b32 v13, a79
	v_mul_f64 v[4:5], v[14:15], v[2:3]
	v_fmac_f64_e32 v[4:5], v[12:13], v[0:1]
	v_mul_f64 v[0:1], v[14:15], v[0:1]
	v_fma_f64 v[0:1], v[12:13], v[2:3], -v[0:1]
	v_mul_f64 v[4:5], v[4:5], s[0:1]
	v_mul_f64 v[6:7], v[0:1], s[0:1]
	v_lshl_add_u64 v[12:13], v[16:17], 0, s[8:9]
	global_store_dwordx4 v[12:13], v[4:7], off
	v_accvgpr_read_b32 v14, a74
	v_lshl_add_u64 v[12:13], v[12:13], 0, s[10:11]
	v_accvgpr_read_b32 v4, a82
	v_accvgpr_read_b32 v6, a84
	v_accvgpr_read_b32 v7, a85
	v_accvgpr_read_b32 v5, a83
	s_waitcnt lgkmcnt(0)
	v_mul_f64 v[0:1], v[6:7], v[10:11]
	v_mul_f64 v[2:3], v[6:7], v[8:9]
	v_fmac_f64_e32 v[0:1], v[4:5], v[8:9]
	v_fma_f64 v[2:3], v[4:5], v[10:11], -v[2:3]
	ds_read_b128 v[4:7], v200 offset:3328
	v_mul_f64 v[0:1], v[0:1], s[0:1]
	v_mul_f64 v[2:3], v[2:3], s[0:1]
	v_accvgpr_read_b32 v16, a76
	v_accvgpr_read_b32 v17, a77
	global_store_dwordx4 v[12:13], v[0:3], off
	ds_read_b128 v[0:3], v200 offset:4160
	v_accvgpr_read_b32 v15, a75
	s_waitcnt lgkmcnt(1)
	v_mul_f64 v[8:9], v[16:17], v[6:7]
	v_fmac_f64_e32 v[8:9], v[14:15], v[4:5]
	v_mul_f64 v[4:5], v[16:17], v[4:5]
	v_fma_f64 v[10:11], v[14:15], v[6:7], -v[4:5]
	ds_read_b128 v[4:7], v200 offset:12064
	v_mul_f64 v[8:9], v[8:9], s[0:1]
	v_mul_f64 v[10:11], v[10:11], s[0:1]
	v_lshl_add_u64 v[16:17], v[12:13], 0, s[8:9]
	v_accvgpr_read_b32 v21, a73
	global_store_dwordx4 v[16:17], v[8:11], off
	ds_read_b128 v[8:11], v200 offset:12896
	v_accvgpr_read_b32 v19, a71
	s_waitcnt lgkmcnt(1)
	v_mul_f64 v[12:13], v[20:21], v[6:7]
	v_fmac_f64_e32 v[12:13], v[18:19], v[4:5]
	v_mul_f64 v[4:5], v[20:21], v[4:5]
	v_fma_f64 v[4:5], v[18:19], v[6:7], -v[4:5]
	v_mul_f64 v[12:13], v[12:13], s[0:1]
	v_mul_f64 v[14:15], v[4:5], s[0:1]
	v_lshl_add_u64 v[16:17], v[16:17], 0, s[10:11]
	global_store_dwordx4 v[16:17], v[12:15], off
	v_accvgpr_read_b32 v18, a20
	v_accvgpr_read_b32 v20, a22
	v_accvgpr_read_b32 v12, a66
	v_accvgpr_read_b32 v14, a68
	v_accvgpr_read_b32 v15, a69
	v_accvgpr_read_b32 v13, a67
	v_mul_f64 v[4:5], v[14:15], v[2:3]
	v_fmac_f64_e32 v[4:5], v[12:13], v[0:1]
	v_mul_f64 v[0:1], v[14:15], v[0:1]
	v_fma_f64 v[0:1], v[12:13], v[2:3], -v[0:1]
	v_mul_f64 v[4:5], v[4:5], s[0:1]
	v_mul_f64 v[6:7], v[0:1], s[0:1]
	v_lshl_add_u64 v[12:13], v[16:17], 0, s[8:9]
	global_store_dwordx4 v[12:13], v[4:7], off
	v_accvgpr_read_b32 v14, a24
	v_lshl_add_u64 v[12:13], v[12:13], 0, s[10:11]
	v_accvgpr_read_b32 v4, a54
	v_accvgpr_read_b32 v6, a56
	v_accvgpr_read_b32 v7, a57
	v_accvgpr_read_b32 v5, a55
	s_waitcnt lgkmcnt(0)
	v_mul_f64 v[0:1], v[6:7], v[10:11]
	v_mul_f64 v[2:3], v[6:7], v[8:9]
	v_fmac_f64_e32 v[0:1], v[4:5], v[8:9]
	v_fma_f64 v[2:3], v[4:5], v[10:11], -v[2:3]
	ds_read_b128 v[4:7], v200 offset:4992
	v_mul_f64 v[0:1], v[0:1], s[0:1]
	v_mul_f64 v[2:3], v[2:3], s[0:1]
	v_accvgpr_read_b32 v16, a26
	v_accvgpr_read_b32 v17, a27
	global_store_dwordx4 v[12:13], v[0:3], off
	ds_read_b128 v[0:3], v200 offset:5824
	v_accvgpr_read_b32 v15, a25
	s_waitcnt lgkmcnt(1)
	v_mul_f64 v[8:9], v[16:17], v[6:7]
	v_fmac_f64_e32 v[8:9], v[14:15], v[4:5]
	v_mul_f64 v[4:5], v[16:17], v[4:5]
	v_fma_f64 v[10:11], v[14:15], v[6:7], -v[4:5]
	ds_read_b128 v[4:7], v200 offset:13728
	v_mul_f64 v[8:9], v[8:9], s[0:1]
	v_mul_f64 v[10:11], v[10:11], s[0:1]
	v_lshl_add_u64 v[16:17], v[12:13], 0, s[8:9]
	v_accvgpr_read_b32 v21, a23
	global_store_dwordx4 v[16:17], v[8:11], off
	ds_read_b128 v[8:11], v200 offset:14560
	;; [unrolled: 55-line block ×3, first 2 shown]
	v_accvgpr_read_b32 v19, a31
	s_waitcnt lgkmcnt(1)
	v_mul_f64 v[12:13], v[20:21], v[6:7]
	v_fmac_f64_e32 v[12:13], v[18:19], v[4:5]
	v_mul_f64 v[4:5], v[20:21], v[4:5]
	v_fma_f64 v[4:5], v[18:19], v[6:7], -v[4:5]
	v_mul_f64 v[12:13], v[12:13], s[0:1]
	v_mul_f64 v[14:15], v[4:5], s[0:1]
	v_lshl_add_u64 v[16:17], v[16:17], 0, s[10:11]
	global_store_dwordx4 v[16:17], v[12:15], off
	s_nop 1
	v_accvgpr_read_b32 v12, a50
	v_accvgpr_read_b32 v14, a52
	;; [unrolled: 1-line block ×4, first 2 shown]
	v_mul_f64 v[4:5], v[14:15], v[2:3]
	v_fmac_f64_e32 v[4:5], v[12:13], v[0:1]
	v_mul_f64 v[0:1], v[14:15], v[0:1]
	v_fma_f64 v[0:1], v[12:13], v[2:3], -v[0:1]
	v_accvgpr_read_b32 v12, a62
	v_mul_f64 v[4:5], v[4:5], s[0:1]
	v_mul_f64 v[6:7], v[0:1], s[0:1]
	v_lshl_add_u64 v[0:1], v[16:17], 0, s[8:9]
	v_accvgpr_read_b32 v14, a64
	v_accvgpr_read_b32 v15, a65
	global_store_dwordx4 v[0:1], v[4:7], off
	v_accvgpr_read_b32 v13, a63
	s_waitcnt lgkmcnt(0)
	v_mul_f64 v[2:3], v[14:15], v[10:11]
	v_mul_f64 v[4:5], v[14:15], v[8:9]
	v_fmac_f64_e32 v[2:3], v[12:13], v[8:9]
	v_fma_f64 v[4:5], v[12:13], v[10:11], -v[4:5]
	v_mul_f64 v[2:3], v[2:3], s[0:1]
	v_mul_f64 v[4:5], v[4:5], s[0:1]
	v_lshl_add_u64 v[0:1], v[0:1], 0, s[10:11]
	global_store_dwordx4 v[0:1], v[2:5], off
	s_and_b64 exec, exec, s[4:5]
	s_cbranch_execz .LBB0_31
; %bb.30:
	v_accvgpr_read_b32 v17, a1
	v_accvgpr_read_b32 v16, a0
	v_add_co_u32_e32 v2, vcc, 0x2000, v16
	v_lshl_add_u64 v[14:15], s[6:7], 4, v[0:1]
	s_nop 0
	v_addc_co_u32_e32 v3, vcc, 0, v17, vcc
	global_load_dwordx4 v[2:5], v[2:3], off offset:128
	ds_read_b128 v[6:9], v200 offset:8320
	ds_read_b128 v[10:13], v200 offset:17056
	s_movk_i32 s4, 0x4000
	v_add_co_u32_e32 v16, vcc, s4, v16
	s_waitcnt vmcnt(0) lgkmcnt(1)
	v_mul_f64 v[0:1], v[8:9], v[4:5]
	v_mul_f64 v[4:5], v[6:7], v[4:5]
	v_fmac_f64_e32 v[0:1], v[6:7], v[2:3]
	v_fma_f64 v[2:3], v[2:3], v[8:9], -v[4:5]
	v_mul_f64 v[0:1], v[0:1], s[0:1]
	v_mul_f64 v[2:3], v[2:3], s[0:1]
	v_addc_co_u32_e32 v17, vcc, 0, v17, vcc
	global_store_dwordx4 v[14:15], v[0:3], off
	global_load_dwordx4 v[0:3], v[16:17], off offset:672
	s_waitcnt vmcnt(0) lgkmcnt(0)
	v_mul_f64 v[4:5], v[12:13], v[2:3]
	v_mul_f64 v[2:3], v[10:11], v[2:3]
	v_fmac_f64_e32 v[4:5], v[10:11], v[0:1]
	v_fma_f64 v[2:3], v[0:1], v[12:13], -v[2:3]
	v_mul_f64 v[0:1], v[4:5], s[0:1]
	v_mul_f64 v[2:3], v[2:3], s[0:1]
	v_lshl_add_u64 v[4:5], s[2:3], 4, v[14:15]
	global_store_dwordx4 v[4:5], v[0:3], off
.LBB0_31:
	s_endpgm
	.section	.rodata,"a",@progbits
	.p2align	6, 0x0
	.amdhsa_kernel bluestein_single_back_len1092_dim1_dp_op_CI_CI
		.amdhsa_group_segment_fixed_size 17472
		.amdhsa_private_segment_fixed_size 0
		.amdhsa_kernarg_size 104
		.amdhsa_user_sgpr_count 2
		.amdhsa_user_sgpr_dispatch_ptr 0
		.amdhsa_user_sgpr_queue_ptr 0
		.amdhsa_user_sgpr_kernarg_segment_ptr 1
		.amdhsa_user_sgpr_dispatch_id 0
		.amdhsa_user_sgpr_kernarg_preload_length 0
		.amdhsa_user_sgpr_kernarg_preload_offset 0
		.amdhsa_user_sgpr_private_segment_size 0
		.amdhsa_uses_dynamic_stack 0
		.amdhsa_enable_private_segment 0
		.amdhsa_system_sgpr_workgroup_id_x 1
		.amdhsa_system_sgpr_workgroup_id_y 0
		.amdhsa_system_sgpr_workgroup_id_z 0
		.amdhsa_system_sgpr_workgroup_info 0
		.amdhsa_system_vgpr_workitem_id 0
		.amdhsa_next_free_vgpr 470
		.amdhsa_next_free_sgpr 54
		.amdhsa_accum_offset 256
		.amdhsa_reserve_vcc 1
		.amdhsa_float_round_mode_32 0
		.amdhsa_float_round_mode_16_64 0
		.amdhsa_float_denorm_mode_32 3
		.amdhsa_float_denorm_mode_16_64 3
		.amdhsa_dx10_clamp 1
		.amdhsa_ieee_mode 1
		.amdhsa_fp16_overflow 0
		.amdhsa_tg_split 0
		.amdhsa_exception_fp_ieee_invalid_op 0
		.amdhsa_exception_fp_denorm_src 0
		.amdhsa_exception_fp_ieee_div_zero 0
		.amdhsa_exception_fp_ieee_overflow 0
		.amdhsa_exception_fp_ieee_underflow 0
		.amdhsa_exception_fp_ieee_inexact 0
		.amdhsa_exception_int_div_zero 0
	.end_amdhsa_kernel
	.text
.Lfunc_end0:
	.size	bluestein_single_back_len1092_dim1_dp_op_CI_CI, .Lfunc_end0-bluestein_single_back_len1092_dim1_dp_op_CI_CI
                                        ; -- End function
	.section	.AMDGPU.csdata,"",@progbits
; Kernel info:
; codeLenInByte = 38292
; NumSgprs: 60
; NumVgprs: 256
; NumAgprs: 214
; TotalNumVgprs: 470
; ScratchSize: 0
; MemoryBound: 0
; FloatMode: 240
; IeeeMode: 1
; LDSByteSize: 17472 bytes/workgroup (compile time only)
; SGPRBlocks: 7
; VGPRBlocks: 58
; NumSGPRsForWavesPerEU: 60
; NumVGPRsForWavesPerEU: 470
; AccumOffset: 256
; Occupancy: 1
; WaveLimiterHint : 1
; COMPUTE_PGM_RSRC2:SCRATCH_EN: 0
; COMPUTE_PGM_RSRC2:USER_SGPR: 2
; COMPUTE_PGM_RSRC2:TRAP_HANDLER: 0
; COMPUTE_PGM_RSRC2:TGID_X_EN: 1
; COMPUTE_PGM_RSRC2:TGID_Y_EN: 0
; COMPUTE_PGM_RSRC2:TGID_Z_EN: 0
; COMPUTE_PGM_RSRC2:TIDIG_COMP_CNT: 0
; COMPUTE_PGM_RSRC3_GFX90A:ACCUM_OFFSET: 63
; COMPUTE_PGM_RSRC3_GFX90A:TG_SPLIT: 0
	.text
	.p2alignl 6, 3212836864
	.fill 256, 4, 3212836864
	.type	__hip_cuid_8b24bf4727cec96c,@object ; @__hip_cuid_8b24bf4727cec96c
	.section	.bss,"aw",@nobits
	.globl	__hip_cuid_8b24bf4727cec96c
__hip_cuid_8b24bf4727cec96c:
	.byte	0                               ; 0x0
	.size	__hip_cuid_8b24bf4727cec96c, 1

	.ident	"AMD clang version 19.0.0git (https://github.com/RadeonOpenCompute/llvm-project roc-6.4.0 25133 c7fe45cf4b819c5991fe208aaa96edf142730f1d)"
	.section	".note.GNU-stack","",@progbits
	.addrsig
	.addrsig_sym __hip_cuid_8b24bf4727cec96c
	.amdgpu_metadata
---
amdhsa.kernels:
  - .agpr_count:     214
    .args:
      - .actual_access:  read_only
        .address_space:  global
        .offset:         0
        .size:           8
        .value_kind:     global_buffer
      - .actual_access:  read_only
        .address_space:  global
        .offset:         8
        .size:           8
        .value_kind:     global_buffer
      - .actual_access:  read_only
        .address_space:  global
        .offset:         16
        .size:           8
        .value_kind:     global_buffer
      - .actual_access:  read_only
        .address_space:  global
        .offset:         24
        .size:           8
        .value_kind:     global_buffer
      - .actual_access:  read_only
        .address_space:  global
        .offset:         32
        .size:           8
        .value_kind:     global_buffer
      - .offset:         40
        .size:           8
        .value_kind:     by_value
      - .address_space:  global
        .offset:         48
        .size:           8
        .value_kind:     global_buffer
      - .address_space:  global
        .offset:         56
        .size:           8
        .value_kind:     global_buffer
      - .address_space:  global
        .offset:         64
        .size:           8
        .value_kind:     global_buffer
      - .address_space:  global
        .offset:         72
        .size:           8
        .value_kind:     global_buffer
      - .offset:         80
        .size:           4
        .value_kind:     by_value
      - .address_space:  global
        .offset:         88
        .size:           8
        .value_kind:     global_buffer
      - .address_space:  global
        .offset:         96
        .size:           8
        .value_kind:     global_buffer
    .group_segment_fixed_size: 17472
    .kernarg_segment_align: 8
    .kernarg_segment_size: 104
    .language:       OpenCL C
    .language_version:
      - 2
      - 0
    .max_flat_workgroup_size: 52
    .name:           bluestein_single_back_len1092_dim1_dp_op_CI_CI
    .private_segment_fixed_size: 0
    .sgpr_count:     60
    .sgpr_spill_count: 0
    .symbol:         bluestein_single_back_len1092_dim1_dp_op_CI_CI.kd
    .uniform_work_group_size: 1
    .uses_dynamic_stack: false
    .vgpr_count:     470
    .vgpr_spill_count: 0
    .wavefront_size: 64
amdhsa.target:   amdgcn-amd-amdhsa--gfx950
amdhsa.version:
  - 1
  - 2
...

	.end_amdgpu_metadata
